;; amdgpu-corpus repo=ROCm/rocFFT kind=compiled arch=gfx906 opt=O3
	.text
	.amdgcn_target "amdgcn-amd-amdhsa--gfx906"
	.amdhsa_code_object_version 6
	.protected	bluestein_single_fwd_len1944_dim1_dp_op_CI_CI ; -- Begin function bluestein_single_fwd_len1944_dim1_dp_op_CI_CI
	.globl	bluestein_single_fwd_len1944_dim1_dp_op_CI_CI
	.p2align	8
	.type	bluestein_single_fwd_len1944_dim1_dp_op_CI_CI,@function
bluestein_single_fwd_len1944_dim1_dp_op_CI_CI: ; @bluestein_single_fwd_len1944_dim1_dp_op_CI_CI
; %bb.0:
	s_load_dwordx4 s[8:11], s[4:5], 0x28
	v_mul_u32_u24_e32 v1, 0x10e, v0
	v_add_u32_sdwa v184, s6, v1 dst_sel:DWORD dst_unused:UNUSED_PAD src0_sel:DWORD src1_sel:WORD_1
	v_mov_b32_e32 v185, 0
	s_waitcnt lgkmcnt(0)
	v_cmp_gt_u64_e32 vcc, s[8:9], v[184:185]
	s_and_saveexec_b64 s[0:1], vcc
	s_cbranch_execz .LBB0_47
; %bb.1:
	s_load_dwordx4 s[12:15], s[4:5], 0x18
	s_movk_i32 s6, 0xf3
	v_mul_lo_u16_sdwa v1, v1, s6 dst_sel:DWORD dst_unused:UNUSED_PAD src0_sel:WORD_1 src1_sel:DWORD
	v_sub_u16_e32 v188, v0, v1
	v_lshlrev_b32_e32 v185, 4, v188
	s_waitcnt lgkmcnt(0)
	s_load_dwordx4 s[0:3], s[12:13], 0x0
	s_waitcnt lgkmcnt(0)
	v_mad_u64_u32 v[0:1], s[6:7], s2, v184, 0
	v_mad_u64_u32 v[2:3], s[6:7], s0, v188, 0
	s_load_dwordx2 s[12:13], s[4:5], 0x0
	s_mul_i32 s6, s1, 0x288
	v_mad_u64_u32 v[4:5], s[2:3], s3, v184, v[1:2]
	s_mul_hi_u32 s7, s0, 0x288
	s_add_i32 s7, s7, s6
	v_mad_u64_u32 v[5:6], s[2:3], s1, v188, v[3:4]
	v_mov_b32_e32 v1, v4
	v_lshlrev_b64 v[0:1], 4, v[0:1]
	v_mov_b32_e32 v6, s11
	v_mov_b32_e32 v3, v5
	v_add_co_u32_e32 v4, vcc, s10, v0
	v_addc_co_u32_e32 v5, vcc, v6, v1, vcc
	v_lshlrev_b64 v[0:1], 4, v[2:3]
	s_waitcnt lgkmcnt(0)
	v_mov_b32_e32 v2, s13
	v_add_co_u32_e32 v0, vcc, v4, v0
	v_add_co_u32_e64 v186, s[2:3], s12, v185
	s_mul_i32 s6, s0, 0x288
	v_addc_co_u32_e32 v1, vcc, v5, v1, vcc
	v_addc_co_u32_e64 v187, vcc, 0, v2, s[2:3]
	s_lshl_b64 s[16:17], s[6:7], 4
	v_mov_b32_e32 v18, s17
	v_add_co_u32_e32 v4, vcc, s16, v0
	v_addc_co_u32_e32 v5, vcc, v1, v18, vcc
	s_movk_i32 s6, 0x2000
	global_load_dwordx4 v[28:31], v[0:1], off
	global_load_dwordx4 v[32:35], v[4:5], off
	v_add_co_u32_e32 v0, vcc, s6, v186
	v_addc_co_u32_e32 v1, vcc, 0, v187, vcc
	v_add_co_u32_e32 v8, vcc, s16, v4
	v_addc_co_u32_e32 v9, vcc, v5, v18, vcc
	s_movk_i32 s6, 0x5000
	v_add_co_u32_e32 v4, vcc, s6, v186
	s_mul_hi_u32 s6, s0, 0xfffffbe3
	s_mulk_i32 s1, 0xfbe3
	s_sub_i32 s6, s6, s0
	s_add_i32 s1, s6, s1
	s_mulk_i32 s0, 0xfbe3
	v_addc_co_u32_e32 v5, vcc, 0, v187, vcc
	s_lshl_b64 s[18:19], s[0:1], 4
	v_mov_b32_e32 v10, s19
	v_add_co_u32_e32 v12, vcc, s18, v8
	v_addc_co_u32_e32 v13, vcc, v9, v10, vcc
	v_add_co_u32_e32 v16, vcc, s16, v12
	global_load_dwordx4 v[0:3], v[0:1], off offset:2176
	v_addc_co_u32_e32 v17, vcc, v13, v18, vcc
	global_load_dwordx4 v[4:7], v[4:5], off offset:256
	s_movk_i32 s0, 0x3000
	global_load_dwordx4 v[36:39], v[8:9], off
	global_load_dwordx4 v[20:23], v185, s[12:13]
	s_nop 0
	global_load_dwordx4 v[8:11], v185, s[12:13] offset:3888
	global_load_dwordx4 v[40:43], v[12:13], off
	global_load_dwordx4 v[44:47], v[16:17], off
	v_add_co_u32_e32 v12, vcc, s0, v186
	v_addc_co_u32_e32 v13, vcc, 0, v187, vcc
	v_add_co_u32_e32 v26, vcc, s16, v16
	v_addc_co_u32_e32 v27, vcc, v17, v18, vcc
	s_movk_i32 s0, 0x6000
	v_add_co_u32_e32 v24, vcc, s0, v186
	global_load_dwordx4 v[12:15], v[12:13], off offset:1968
	v_addc_co_u32_e32 v25, vcc, 0, v187, vcc
	global_load_dwordx4 v[16:19], v[24:25], off offset:48
	global_load_dwordx4 v[48:51], v[26:27], off
	s_load_dwordx2 s[6:7], s[4:5], 0x38
	s_load_dwordx4 s[8:11], s[14:15], 0x0
	s_movk_i32 s0, 0xa2
	v_cmp_gt_u16_e64 s[0:1], s0, v188
	s_waitcnt vmcnt(9)
	v_mul_f64 v[56:57], v[34:35], v[2:3]
	v_mul_f64 v[58:59], v[32:33], v[2:3]
	s_waitcnt vmcnt(6)
	v_mul_f64 v[52:53], v[30:31], v[22:23]
	v_mul_f64 v[54:55], v[28:29], v[22:23]
	;; [unrolled: 1-line block ×4, first 2 shown]
	s_waitcnt vmcnt(4)
	v_mul_f64 v[64:65], v[42:43], v[10:11]
	v_mul_f64 v[66:67], v[40:41], v[10:11]
	v_fma_f64 v[32:33], v[32:33], v[0:1], v[56:57]
	v_fma_f64 v[34:35], v[34:35], v[0:1], -v[58:59]
	v_fma_f64 v[28:29], v[28:29], v[20:21], v[52:53]
	v_fma_f64 v[30:31], v[30:31], v[20:21], -v[54:55]
	;; [unrolled: 2-line block ×4, first 2 shown]
	s_waitcnt vmcnt(2)
	v_mul_f64 v[68:69], v[46:47], v[14:15]
	v_mul_f64 v[70:71], v[44:45], v[14:15]
	s_waitcnt vmcnt(0)
	v_mul_f64 v[52:53], v[50:51], v[18:19]
	v_mul_f64 v[54:55], v[48:49], v[18:19]
	v_fma_f64 v[44:45], v[44:45], v[12:13], v[68:69]
	v_fma_f64 v[46:47], v[46:47], v[12:13], -v[70:71]
	v_fma_f64 v[48:49], v[48:49], v[16:17], v[52:53]
	v_fma_f64 v[50:51], v[50:51], v[16:17], -v[54:55]
	ds_write_b128 v185, v[28:31]
	ds_write_b128 v185, v[32:35] offset:10368
	ds_write_b128 v185, v[36:39] offset:20736
	;; [unrolled: 1-line block ×5, first 2 shown]
	s_and_saveexec_b64 s[14:15], s[0:1]
	s_cbranch_execz .LBB0_3
; %bb.2:
	v_mov_b32_e32 v28, s19
	v_add_co_u32_e32 v34, vcc, s18, v26
	v_addc_co_u32_e32 v35, vcc, v27, v28, vcc
	v_add_co_u32_e32 v30, vcc, 0x1000, v186
	v_addc_co_u32_e32 v31, vcc, 0, v187, vcc
	v_mov_b32_e32 v44, s17
	v_add_co_u32_e32 v42, vcc, s16, v34
	v_addc_co_u32_e32 v43, vcc, v35, v44, vcc
	s_movk_i32 s12, 0x4000
	v_add_co_u32_e32 v38, vcc, s12, v186
	global_load_dwordx4 v[26:29], v[34:35], off
	v_addc_co_u32_e32 v39, vcc, 0, v187, vcc
	global_load_dwordx4 v[30:33], v[30:31], off offset:3680
	v_add_co_u32_e32 v50, vcc, s16, v42
	global_load_dwordx4 v[34:37], v[42:43], off
	v_addc_co_u32_e32 v51, vcc, v43, v44, vcc
	global_load_dwordx4 v[38:41], v[38:39], off offset:1760
	s_nop 0
	global_load_dwordx4 v[42:45], v[24:25], off offset:3936
	global_load_dwordx4 v[46:49], v[50:51], off
	s_waitcnt vmcnt(4)
	v_mul_f64 v[24:25], v[28:29], v[32:33]
	v_mul_f64 v[32:33], v[26:27], v[32:33]
	s_waitcnt vmcnt(2)
	v_mul_f64 v[50:51], v[36:37], v[40:41]
	v_mul_f64 v[40:41], v[34:35], v[40:41]
	;; [unrolled: 3-line block ×3, first 2 shown]
	v_fma_f64 v[24:25], v[26:27], v[30:31], v[24:25]
	v_fma_f64 v[26:27], v[28:29], v[30:31], -v[32:33]
	v_fma_f64 v[28:29], v[34:35], v[38:39], v[50:51]
	v_fma_f64 v[30:31], v[36:37], v[38:39], -v[40:41]
	;; [unrolled: 2-line block ×3, first 2 shown]
	ds_write_b128 v185, v[24:27] offset:7776
	ds_write_b128 v185, v[28:31] offset:18144
	;; [unrolled: 1-line block ×3, first 2 shown]
.LBB0_3:
	s_or_b64 exec, exec, s[14:15]
	s_waitcnt lgkmcnt(0)
	s_barrier
	ds_read_b128 v[52:55], v185
	ds_read_b128 v[28:31], v185 offset:3888
	ds_read_b128 v[56:59], v185 offset:10368
	;; [unrolled: 1-line block ×5, first 2 shown]
                                        ; implicit-def: $vgpr40_vgpr41
                                        ; implicit-def: $vgpr44_vgpr45
                                        ; implicit-def: $vgpr36_vgpr37
	s_and_saveexec_b64 s[14:15], s[0:1]
	s_cbranch_execz .LBB0_5
; %bb.4:
	ds_read_b128 v[36:39], v185 offset:7776
	ds_read_b128 v[40:43], v185 offset:18144
	;; [unrolled: 1-line block ×3, first 2 shown]
.LBB0_5:
	s_or_b64 exec, exec, s[14:15]
	s_waitcnt lgkmcnt(1)
	v_add_f64 v[60:61], v[56:57], v[48:49]
	v_add_f64 v[62:63], v[52:53], v[56:57]
	;; [unrolled: 1-line block ×3, first 2 shown]
	v_add_f64 v[66:67], v[58:59], -v[50:51]
	v_add_f64 v[58:59], v[54:55], v[58:59]
	s_movk_i32 s12, 0xf3
	s_movk_i32 s14, 0x1e6
	v_add_co_u32_e32 v140, vcc, s12, v188
	v_fma_f64 v[52:53], v[60:61], -0.5, v[52:53]
	v_add_f64 v[60:61], v[62:63], v[48:49]
	s_waitcnt lgkmcnt(0)
	v_add_f64 v[62:63], v[32:33], v[24:25]
	v_fma_f64 v[54:55], v[68:69], -0.5, v[54:55]
	v_add_f64 v[48:49], v[56:57], -v[48:49]
	v_add_co_u32_e32 v203, vcc, s14, v188
	v_addc_co_u32_e64 v204, s[14:15], 0, 0, vcc
	s_mov_b32 s14, 0xe8584caa
	s_mov_b32 s15, 0x3febb67a
	;; [unrolled: 1-line block ×4, first 2 shown]
	v_fma_f64 v[64:65], v[66:67], s[14:15], v[52:53]
	v_add_f64 v[56:57], v[28:29], v[32:33]
	v_fma_f64 v[74:75], v[62:63], -0.5, v[28:29]
	v_fma_f64 v[68:69], v[66:67], s[16:17], v[52:53]
	v_add_f64 v[62:63], v[58:59], v[50:51]
	v_fma_f64 v[66:67], v[48:49], s[16:17], v[54:55]
	v_add_f64 v[50:51], v[34:35], v[26:27]
	;; [unrolled: 2-line block ×3, first 2 shown]
	v_add_f64 v[52:53], v[42:43], v[46:47]
	v_add_f64 v[76:77], v[34:35], -v[26:27]
	v_add_f64 v[28:29], v[56:57], v[24:25]
	v_add_f64 v[34:35], v[30:31], v[34:35]
	v_add_f64 v[24:25], v[32:33], -v[24:25]
	v_fma_f64 v[50:51], v[50:51], -0.5, v[30:31]
	v_add_f64 v[32:33], v[40:41], v[36:37]
	v_fma_f64 v[36:37], v[48:49], -0.5, v[36:37]
	v_add_f64 v[54:55], v[42:43], -v[46:47]
	v_add_f64 v[42:43], v[42:43], v[38:39]
	v_fma_f64 v[38:39], v[52:53], -0.5, v[38:39]
	v_add_f64 v[40:41], v[40:41], -v[44:45]
	v_fma_f64 v[72:73], v[76:77], s[14:15], v[74:75]
	v_fma_f64 v[76:77], v[76:77], s[16:17], v[74:75]
	v_add_f64 v[30:31], v[34:35], v[26:27]
	v_fma_f64 v[74:75], v[24:25], s[16:17], v[50:51]
	v_fma_f64 v[78:79], v[24:25], s[14:15], v[50:51]
	v_add_f64 v[48:49], v[44:45], v[32:33]
	;; [unrolled: 3-line block ×3, first 2 shown]
	v_fma_f64 v[54:55], v[40:41], s[16:17], v[38:39]
	v_fma_f64 v[58:59], v[40:41], s[14:15], v[38:39]
	s_load_dwordx2 s[4:5], s[4:5], 0x8
	v_mul_lo_u16_e32 v24, 3, v188
	v_lshlrev_b32_e32 v189, 4, v24
	v_mul_u32_u24_e32 v24, 3, v140
	v_lshlrev_b32_e32 v190, 4, v24
	v_mul_u32_u24_e32 v191, 3, v203
	s_waitcnt lgkmcnt(0)
	s_barrier
	ds_write_b128 v189, v[60:63]
	ds_write_b128 v189, v[64:67] offset:16
	ds_write_b128 v189, v[68:71] offset:32
	ds_write_b128 v190, v[28:31]
	ds_write_b128 v190, v[72:75] offset:16
	ds_write_b128 v190, v[76:79] offset:32
	s_and_saveexec_b64 s[14:15], s[0:1]
	s_cbranch_execz .LBB0_7
; %bb.6:
	v_lshlrev_b32_e32 v24, 4, v191
	ds_write_b128 v24, v[48:51]
	ds_write_b128 v24, v[52:55] offset:16
	ds_write_b128 v24, v[56:59] offset:32
.LBB0_7:
	s_or_b64 exec, exec, s[14:15]
	s_waitcnt lgkmcnt(0)
	s_barrier
	ds_read_b128 v[64:67], v185
	ds_read_b128 v[60:63], v185 offset:3888
	ds_read_b128 v[76:79], v185 offset:10368
	;; [unrolled: 1-line block ×5, first 2 shown]
	s_and_saveexec_b64 s[14:15], s[0:1]
	s_cbranch_execz .LBB0_9
; %bb.8:
	ds_read_b128 v[48:51], v185 offset:7776
	ds_read_b128 v[52:55], v185 offset:18144
	;; [unrolled: 1-line block ×3, first 2 shown]
.LBB0_9:
	s_or_b64 exec, exec, s[14:15]
	s_movk_i32 s12, 0xab
	v_mul_lo_u16_sdwa v24, v188, s12 dst_sel:DWORD dst_unused:UNUSED_PAD src0_sel:BYTE_0 src1_sel:DWORD
	v_lshrrev_b16_e32 v84, 9, v24
	v_mul_lo_u16_e32 v24, 3, v84
	v_sub_u16_e32 v24, v188, v24
	v_and_b32_e32 v85, 0xff, v24
	v_lshlrev_b32_e32 v32, 5, v85
	s_mov_b32 s12, 0xaaab
	global_load_dwordx4 v[24:27], v32, s[4:5] offset:16
	global_load_dwordx4 v[28:31], v32, s[4:5]
	v_mul_u32_u24_sdwa v32, v140, s12 dst_sel:DWORD dst_unused:UNUSED_PAD src0_sel:WORD_0 src1_sel:DWORD
	v_lshrrev_b32_e32 v86, 17, v32
	v_mul_lo_u16_e32 v32, 3, v86
	v_sub_u16_e32 v87, v140, v32
	v_lshlrev_b16_e32 v32, 1, v87
	v_lshlrev_b32_e32 v40, 4, v32
	global_load_dwordx4 v[32:35], v40, s[4:5] offset:16
	global_load_dwordx4 v[36:39], v40, s[4:5]
	v_mul_u32_u24_sdwa v40, v203, s12 dst_sel:DWORD dst_unused:UNUSED_PAD src0_sel:WORD_0 src1_sel:DWORD
	v_lshrrev_b32_e32 v112, 17, v40
	v_mul_lo_u16_e32 v40, 3, v112
	v_sub_u16_e32 v113, v203, v40
	v_lshlrev_b16_e32 v40, 1, v113
	v_lshlrev_b32_e32 v88, 4, v40
	global_load_dwordx4 v[44:47], v88, s[4:5]
	global_load_dwordx4 v[40:43], v88, s[4:5] offset:16
	v_mul_u32_u24_e32 v84, 9, v84
	v_mad_legacy_u16 v86, v86, 9, v87
	v_add_lshl_u32 v193, v84, v85, 4
	v_lshlrev_b32_e32 v192, 4, v86
	s_mov_b32 s14, 0xe8584caa
	s_mov_b32 s15, 0x3febb67a
	;; [unrolled: 1-line block ×3, first 2 shown]
	v_mad_legacy_u16 v194, v112, 9, v113
	s_waitcnt vmcnt(0) lgkmcnt(0)
	s_barrier
	v_mul_f64 v[88:89], v[82:83], v[26:27]
	v_mul_f64 v[84:85], v[78:79], v[30:31]
	;; [unrolled: 1-line block ×8, first 2 shown]
	v_fma_f64 v[76:77], v[76:77], v[28:29], -v[84:85]
	v_fma_f64 v[78:79], v[78:79], v[28:29], v[86:87]
	v_fma_f64 v[80:81], v[80:81], v[24:25], -v[88:89]
	v_mul_f64 v[100:101], v[54:55], v[46:47]
	v_mul_f64 v[102:103], v[52:53], v[46:47]
	;; [unrolled: 1-line block ×4, first 2 shown]
	v_fma_f64 v[82:83], v[82:83], v[24:25], v[90:91]
	v_fma_f64 v[68:69], v[68:69], v[36:37], -v[92:93]
	v_fma_f64 v[72:73], v[72:73], v[32:33], -v[96:97]
	v_fma_f64 v[70:71], v[70:71], v[36:37], v[94:95]
	v_fma_f64 v[52:53], v[52:53], v[44:45], -v[100:101]
	v_fma_f64 v[54:55], v[54:55], v[44:45], v[102:103]
	;; [unrolled: 2-line block ×3, first 2 shown]
	v_fma_f64 v[74:75], v[74:75], v[32:33], v[98:99]
	v_add_f64 v[56:57], v[64:65], v[76:77]
	v_add_f64 v[58:59], v[76:77], v[80:81]
	v_add_f64 v[88:89], v[78:79], -v[82:83]
	v_add_f64 v[90:91], v[66:67], v[78:79]
	v_add_f64 v[78:79], v[78:79], v[82:83]
	;; [unrolled: 1-line block ×5, first 2 shown]
	v_add_f64 v[96:97], v[70:71], -v[74:75]
	v_add_f64 v[98:99], v[62:63], v[70:71]
	v_add_f64 v[70:71], v[70:71], v[74:75]
	v_add_f64 v[76:77], v[76:77], -v[80:81]
	v_add_f64 v[92:93], v[60:61], v[68:69]
	v_add_f64 v[100:101], v[68:69], -v[72:73]
	;; [unrolled: 2-line block ×4, first 2 shown]
	v_add_f64 v[52:53], v[56:57], v[80:81]
	v_fma_f64 v[64:65], v[58:59], -0.5, v[64:65]
	v_add_f64 v[54:55], v[90:91], v[82:83]
	v_fma_f64 v[66:67], v[78:79], -0.5, v[66:67]
	v_fma_f64 v[78:79], v[94:95], -0.5, v[60:61]
	;; [unrolled: 1-line block ×5, first 2 shown]
	v_add_f64 v[56:57], v[92:93], v[72:73]
	v_add_f64 v[58:59], v[98:99], v[74:75]
	;; [unrolled: 1-line block ×4, first 2 shown]
	v_fma_f64 v[48:49], v[88:89], s[14:15], v[64:65]
	v_fma_f64 v[60:61], v[88:89], s[16:17], v[64:65]
	;; [unrolled: 1-line block ×12, first 2 shown]
	ds_write_b128 v193, v[52:55]
	ds_write_b128 v193, v[48:51] offset:48
	ds_write_b128 v193, v[60:63] offset:96
	ds_write_b128 v192, v[56:59]
	ds_write_b128 v192, v[64:67] offset:48
	ds_write_b128 v192, v[68:71] offset:96
	s_and_saveexec_b64 s[14:15], s[0:1]
	s_cbranch_execz .LBB0_11
; %bb.10:
	v_lshlrev_b32_e32 v48, 4, v194
	ds_write_b128 v48, v[72:75]
	ds_write_b128 v48, v[76:79] offset:48
	ds_write_b128 v48, v[80:83] offset:96
.LBB0_11:
	s_or_b64 exec, exec, s[14:15]
	s_waitcnt lgkmcnt(0)
	s_barrier
	ds_read_b128 v[88:91], v185
	ds_read_b128 v[84:87], v185 offset:3888
	ds_read_b128 v[100:103], v185 offset:10368
	;; [unrolled: 1-line block ×5, first 2 shown]
	s_and_saveexec_b64 s[14:15], s[0:1]
	s_cbranch_execz .LBB0_13
; %bb.12:
	ds_read_b128 v[72:75], v185 offset:7776
	ds_read_b128 v[76:79], v185 offset:18144
	;; [unrolled: 1-line block ×3, first 2 shown]
.LBB0_13:
	s_or_b64 exec, exec, s[14:15]
	v_mov_b32_e32 v48, 57
	v_mul_lo_u16_sdwa v48, v188, v48 dst_sel:DWORD dst_unused:UNUSED_PAD src0_sel:BYTE_0 src1_sel:DWORD
	v_lshrrev_b16_e32 v108, 9, v48
	v_mul_lo_u16_e32 v48, 9, v108
	v_sub_u16_e32 v48, v188, v48
	v_and_b32_e32 v109, 0xff, v48
	v_lshlrev_b32_e32 v56, 5, v109
	s_mov_b32 s12, 0xe38f
	global_load_dwordx4 v[48:51], v56, s[4:5] offset:112
	global_load_dwordx4 v[52:55], v56, s[4:5] offset:96
	v_mul_u32_u24_sdwa v56, v140, s12 dst_sel:DWORD dst_unused:UNUSED_PAD src0_sel:WORD_0 src1_sel:DWORD
	v_lshrrev_b32_e32 v110, 19, v56
	v_mul_lo_u16_e32 v56, 9, v110
	v_sub_u16_e32 v111, v140, v56
	v_lshlrev_b16_e32 v56, 5, v111
	v_mov_b32_e32 v66, s5
	v_add_co_u32_e32 v64, vcc, s4, v56
	v_addc_co_u32_e32 v65, vcc, 0, v66, vcc
	global_load_dwordx4 v[56:59], v[64:65], off offset:112
	global_load_dwordx4 v[60:63], v[64:65], off offset:96
	v_mul_u32_u24_sdwa v64, v203, s12 dst_sel:DWORD dst_unused:UNUSED_PAD src0_sel:WORD_0 src1_sel:DWORD
	v_lshrrev_b32_e32 v136, 19, v64
	v_mul_lo_u16_e32 v64, 9, v136
	v_sub_u16_e32 v137, v203, v64
	v_lshlrev_b16_e32 v64, 5, v137
	v_add_co_u32_e32 v64, vcc, s4, v64
	v_addc_co_u32_e32 v65, vcc, 0, v66, vcc
	global_load_dwordx4 v[68:71], v[64:65], off offset:96
	s_nop 0
	global_load_dwordx4 v[64:67], v[64:65], off offset:112
	v_mul_u32_u24_e32 v108, 27, v108
	v_mad_legacy_u16 v110, v110, 27, v111
	v_add_lshl_u32 v198, v108, v109, 4
	v_lshlrev_b32_e32 v197, 4, v110
	s_mov_b32 s14, 0xe8584caa
	s_mov_b32 s15, 0x3febb67a
	;; [unrolled: 1-line block ×3, first 2 shown]
	v_mad_legacy_u16 v199, v136, 27, v137
	s_waitcnt vmcnt(0) lgkmcnt(0)
	s_barrier
	v_mul_f64 v[112:113], v[106:107], v[50:51]
	v_mul_f64 v[108:109], v[102:103], v[54:55]
	;; [unrolled: 1-line block ×4, first 2 shown]
	v_fma_f64 v[104:105], v[104:105], v[48:49], -v[112:113]
	v_fma_f64 v[100:101], v[100:101], v[52:53], -v[108:109]
	v_fma_f64 v[102:103], v[102:103], v[52:53], v[110:111]
	v_mul_f64 v[120:121], v[98:99], v[58:59]
	v_mul_f64 v[116:117], v[94:95], v[62:63]
	v_mul_f64 v[118:119], v[92:93], v[62:63]
	v_mul_f64 v[122:123], v[96:97], v[58:59]
	v_fma_f64 v[106:107], v[106:107], v[48:49], v[114:115]
	v_add_f64 v[114:115], v[90:91], v[102:103]
	v_fma_f64 v[96:97], v[96:97], v[56:57], -v[120:121]
	v_fma_f64 v[92:93], v[92:93], v[60:61], -v[116:117]
	v_mul_f64 v[124:125], v[78:79], v[70:71]
	v_mul_f64 v[126:127], v[76:77], v[70:71]
	;; [unrolled: 1-line block ×4, first 2 shown]
	v_fma_f64 v[94:95], v[94:95], v[60:61], v[118:119]
	v_fma_f64 v[98:99], v[98:99], v[56:57], v[122:123]
	v_add_f64 v[112:113], v[102:103], -v[106:107]
	v_add_f64 v[102:103], v[102:103], v[106:107]
	v_fma_f64 v[76:77], v[76:77], v[68:69], -v[124:125]
	v_fma_f64 v[78:79], v[78:79], v[68:69], v[126:127]
	v_fma_f64 v[108:109], v[80:81], v[64:65], -v[128:129]
	v_fma_f64 v[110:111], v[82:83], v[64:65], v[130:131]
	v_add_f64 v[80:81], v[88:89], v[100:101]
	v_add_f64 v[82:83], v[100:101], v[104:105]
	;; [unrolled: 1-line block ×3, first 2 shown]
	v_add_f64 v[120:121], v[94:95], -v[98:99]
	v_add_f64 v[122:123], v[86:87], v[94:95]
	v_add_f64 v[94:95], v[94:95], v[98:99]
	;; [unrolled: 1-line block ×4, first 2 shown]
	v_add_f64 v[100:101], v[100:101], -v[104:105]
	v_add_f64 v[116:117], v[84:85], v[92:93]
	v_add_f64 v[124:125], v[92:93], -v[96:97]
	v_add_f64 v[92:93], v[72:73], v[76:77]
	;; [unrolled: 2-line block ×4, first 2 shown]
	v_fma_f64 v[88:89], v[82:83], -0.5, v[88:89]
	v_add_f64 v[78:79], v[114:115], v[106:107]
	v_fma_f64 v[90:91], v[102:103], -0.5, v[90:91]
	v_fma_f64 v[102:103], v[118:119], -0.5, v[84:85]
	;; [unrolled: 1-line block ×5, first 2 shown]
	v_add_f64 v[80:81], v[116:117], v[96:97]
	v_add_f64 v[82:83], v[122:123], v[98:99]
	;; [unrolled: 1-line block ×4, first 2 shown]
	v_fma_f64 v[72:73], v[112:113], s[14:15], v[88:89]
	v_fma_f64 v[84:85], v[112:113], s[16:17], v[88:89]
	;; [unrolled: 1-line block ×12, first 2 shown]
	ds_write_b128 v198, v[76:79]
	ds_write_b128 v198, v[72:75] offset:144
	ds_write_b128 v198, v[84:87] offset:288
	ds_write_b128 v197, v[80:83]
	ds_write_b128 v197, v[88:91] offset:144
	ds_write_b128 v197, v[92:95] offset:288
	s_and_saveexec_b64 s[14:15], s[0:1]
	s_cbranch_execz .LBB0_15
; %bb.14:
	v_lshlrev_b32_e32 v72, 4, v199
	ds_write_b128 v72, v[96:99]
	ds_write_b128 v72, v[100:103] offset:144
	ds_write_b128 v72, v[104:107] offset:288
.LBB0_15:
	s_or_b64 exec, exec, s[14:15]
	s_waitcnt lgkmcnt(0)
	s_barrier
	ds_read_b128 v[112:115], v185
	ds_read_b128 v[108:111], v185 offset:3888
	ds_read_b128 v[124:127], v185 offset:10368
	;; [unrolled: 1-line block ×5, first 2 shown]
	s_and_saveexec_b64 s[14:15], s[0:1]
	s_cbranch_execz .LBB0_17
; %bb.16:
	ds_read_b128 v[96:99], v185 offset:7776
	ds_read_b128 v[100:103], v185 offset:18144
	;; [unrolled: 1-line block ×3, first 2 shown]
.LBB0_17:
	s_or_b64 exec, exec, s[14:15]
	s_movk_i32 s12, 0x2f69
	v_mul_u32_u24_sdwa v80, v140, s12 dst_sel:DWORD dst_unused:UNUSED_PAD src0_sel:WORD_0 src1_sel:DWORD
	v_sub_u16_sdwa v81, v140, v80 dst_sel:DWORD dst_unused:UNUSED_PAD src0_sel:DWORD src1_sel:WORD_1
	v_lshrrev_b16_e32 v81, 1, v81
	v_mov_b32_e32 v72, 19
	v_add_u16_sdwa v80, v81, v80 dst_sel:DWORD dst_unused:UNUSED_PAD src0_sel:DWORD src1_sel:WORD_1
	v_mul_lo_u16_sdwa v72, v188, v72 dst_sel:DWORD dst_unused:UNUSED_PAD src0_sel:BYTE_0 src1_sel:DWORD
	v_lshrrev_b16_e32 v134, 4, v80
	v_lshrrev_b16_e32 v132, 9, v72
	v_mul_lo_u16_e32 v80, 27, v134
	v_mul_lo_u16_e32 v72, 27, v132
	v_sub_u16_e32 v135, v140, v80
	v_sub_u16_e32 v72, v188, v72
	v_lshlrev_b16_e32 v80, 5, v135
	v_and_b32_e32 v133, 0xff, v72
	v_mov_b32_e32 v86, s5
	v_add_co_u32_e32 v84, vcc, s4, v80
	v_lshlrev_b32_e32 v76, 5, v133
	v_addc_co_u32_e32 v85, vcc, 0, v86, vcc
	global_load_dwordx4 v[72:75], v76, s[4:5] offset:400
	s_nop 0
	global_load_dwordx4 v[76:79], v76, s[4:5] offset:384
	s_nop 0
	global_load_dwordx4 v[80:83], v[84:85], off offset:400
	global_load_dwordx4 v[92:95], v[84:85], off offset:384
	v_mul_u32_u24_sdwa v84, v203, s12 dst_sel:DWORD dst_unused:UNUSED_PAD src0_sel:WORD_0 src1_sel:DWORD
	v_sub_u16_sdwa v85, v203, v84 dst_sel:DWORD dst_unused:UNUSED_PAD src0_sel:DWORD src1_sel:WORD_1
	v_lshrrev_b16_e32 v85, 1, v85
	v_add_u16_sdwa v84, v85, v84 dst_sel:DWORD dst_unused:UNUSED_PAD src0_sel:DWORD src1_sel:WORD_1
	v_lshrrev_b16_e32 v195, 4, v84
	v_mul_lo_u16_e32 v84, 27, v195
	v_sub_u16_e32 v196, v203, v84
	v_lshlrev_b16_e32 v84, 5, v196
	v_add_co_u32_e32 v84, vcc, s4, v84
	v_addc_co_u32_e32 v85, vcc, 0, v86, vcc
	global_load_dwordx4 v[88:91], v[84:85], off offset:384
	s_nop 0
	global_load_dwordx4 v[84:87], v[84:85], off offset:400
	s_movk_i32 s12, 0x51
	v_mul_u32_u24_e32 v132, 0x51, v132
	v_add_lshl_u32 v200, v132, v133, 4
	v_mad_legacy_u16 v132, v134, s12, v135
	v_lshlrev_b32_e32 v201, 4, v132
	s_mov_b32 s14, 0xe8584caa
	s_mov_b32 s15, 0x3febb67a
	;; [unrolled: 1-line block ×3, first 2 shown]
	s_waitcnt vmcnt(0) lgkmcnt(0)
	s_barrier
	v_mul_f64 v[136:137], v[130:131], v[74:75]
	v_mul_f64 v[132:133], v[126:127], v[78:79]
	;; [unrolled: 1-line block ×8, first 2 shown]
	v_fma_f64 v[128:129], v[128:129], v[72:73], -v[136:137]
	v_fma_f64 v[124:125], v[124:125], v[76:77], -v[132:133]
	v_fma_f64 v[126:127], v[126:127], v[76:77], v[134:135]
	v_fma_f64 v[130:131], v[130:131], v[72:73], v[138:139]
	v_fma_f64 v[132:133], v[116:117], v[92:93], -v[141:142]
	v_fma_f64 v[134:135], v[118:119], v[92:93], v[143:144]
	v_mul_f64 v[149:150], v[102:103], v[90:91]
	v_mul_f64 v[151:152], v[100:101], v[90:91]
	;; [unrolled: 1-line block ×4, first 2 shown]
	v_fma_f64 v[136:137], v[120:121], v[80:81], -v[145:146]
	v_fma_f64 v[138:139], v[122:123], v[80:81], v[147:148]
	v_add_f64 v[141:142], v[124:125], v[128:129]
	v_add_f64 v[143:144], v[126:127], -v[130:131]
	v_fma_f64 v[116:117], v[100:101], v[88:89], -v[149:150]
	v_fma_f64 v[118:119], v[102:103], v[88:89], v[151:152]
	v_fma_f64 v[100:101], v[104:105], v[84:85], -v[153:154]
	v_fma_f64 v[102:103], v[106:107], v[84:85], v[155:156]
	v_add_f64 v[106:107], v[112:113], v[124:125]
	v_add_f64 v[145:146], v[114:115], v[126:127]
	;; [unrolled: 1-line block ×5, first 2 shown]
	v_add_f64 v[157:158], v[132:133], -v[136:137]
	v_add_f64 v[132:133], v[116:117], v[100:101]
	v_add_f64 v[159:160], v[118:119], v[102:103]
	v_add_f64 v[153:154], v[134:135], -v[138:139]
	v_add_f64 v[155:156], v[110:111], v[134:135]
	v_add_f64 v[134:135], v[134:135], v[138:139]
	v_add_f64 v[147:148], v[124:125], -v[128:129]
	v_add_f64 v[104:105], v[118:119], -v[102:103]
	;; [unrolled: 1-line block ×3, first 2 shown]
	v_add_f64 v[122:123], v[106:107], v[128:129]
	v_fma_f64 v[128:129], v[141:142], -0.5, v[112:113]
	v_fma_f64 v[141:142], v[126:127], -0.5, v[114:115]
	v_add_f64 v[112:113], v[149:150], v[136:137]
	v_fma_f64 v[136:137], v[151:152], -0.5, v[108:109]
	v_fma_f64 v[106:107], v[132:133], -0.5, v[96:97]
	;; [unrolled: 1-line block ×4, first 2 shown]
	v_add_f64 v[124:125], v[145:146], v[130:131]
	v_fma_f64 v[126:127], v[143:144], s[14:15], v[128:129]
	v_fma_f64 v[130:131], v[143:144], s[16:17], v[128:129]
	;; [unrolled: 1-line block ×6, first 2 shown]
	v_add_f64 v[114:115], v[155:156], v[138:139]
	v_fma_f64 v[134:135], v[153:154], s[14:15], v[136:137]
	v_fma_f64 v[141:142], v[153:154], s[16:17], v[136:137]
	;; [unrolled: 1-line block ×4, first 2 shown]
	ds_write_b128 v200, v[122:125]
	ds_write_b128 v200, v[126:129] offset:432
	ds_write_b128 v200, v[130:133] offset:864
	ds_write_b128 v201, v[112:115]
	ds_write_b128 v201, v[134:137] offset:432
	ds_write_b128 v201, v[141:144] offset:864
	s_and_saveexec_b64 s[16:17], s[0:1]
	s_cbranch_execz .LBB0_19
; %bb.18:
	v_add_f64 v[112:113], v[98:99], v[118:119]
	v_add_f64 v[96:97], v[96:97], v[116:117]
	v_mul_f64 v[110:111], v[120:121], s[14:15]
	v_mul_f64 v[104:105], v[104:105], s[14:15]
	v_add_f64 v[102:103], v[112:113], v[102:103]
	v_add_f64 v[100:101], v[96:97], v[100:101]
	v_add_f64 v[98:99], v[108:109], -v[110:111]
	v_add_f64 v[96:97], v[104:105], v[106:107]
	v_mad_legacy_u16 v104, v195, s12, v196
	v_lshlrev_b32_e32 v104, 4, v104
	ds_write_b128 v104, v[100:103]
	ds_write_b128 v104, v[96:99] offset:432
	ds_write_b128 v104, v[148:151] offset:864
.LBB0_19:
	s_or_b64 exec, exec, s[16:17]
	s_movk_i32 s12, 0xcb
	v_mul_lo_u16_sdwa v96, v188, s12 dst_sel:DWORD dst_unused:UNUSED_PAD src0_sel:BYTE_0 src1_sel:DWORD
	v_lshrrev_b16_e32 v145, 14, v96
	v_mul_lo_u16_e32 v96, 0x51, v145
	v_sub_u16_e32 v96, v188, v96
	v_and_b32_e32 v146, 0xff, v96
	v_mov_b32_e32 v97, s5
	s_movk_i32 s12, 0x70
	v_mov_b32_e32 v96, s4
	v_mad_u64_u32 v[112:113], s[14:15], v146, s12, v[96:97]
	s_waitcnt lgkmcnt(0)
	s_barrier
	global_load_dwordx4 v[108:111], v[112:113], off offset:1248
	global_load_dwordx4 v[104:107], v[112:113], off offset:1264
	;; [unrolled: 1-line block ×6, first 2 shown]
	s_nop 0
	global_load_dwordx4 v[112:115], v[112:113], off offset:1344
	ds_read_b128 v[124:127], v185
	ds_read_b128 v[128:131], v185 offset:3888
	ds_read_b128 v[132:135], v185 offset:7776
	;; [unrolled: 1-line block ×7, first 2 shown]
	v_mul_u32_u24_e32 v145, 0x288, v145
	v_add_lshl_u32 v202, v145, v146, 4
	s_mov_b32 s14, 0x667f3bcd
	s_mov_b32 s15, 0xbfe6a09e
	;; [unrolled: 1-line block ×4, first 2 shown]
	s_waitcnt vmcnt(0) lgkmcnt(0)
	s_barrier
	v_mul_f64 v[145:146], v[130:131], v[110:111]
	v_mul_f64 v[164:165], v[128:129], v[110:111]
	;; [unrolled: 1-line block ×14, first 2 shown]
	v_fma_f64 v[128:129], v[128:129], v[108:109], -v[145:146]
	v_fma_f64 v[130:131], v[130:131], v[108:109], v[164:165]
	v_fma_f64 v[132:133], v[132:133], v[104:105], -v[166:167]
	v_fma_f64 v[134:135], v[134:135], v[104:105], v[168:169]
	;; [unrolled: 2-line block ×7, first 2 shown]
	v_add_f64 v[141:142], v[124:125], -v[141:142]
	v_add_f64 v[143:144], v[126:127], -v[143:144]
	;; [unrolled: 1-line block ×8, first 2 shown]
	v_fma_f64 v[124:125], v[124:125], 2.0, -v[141:142]
	v_fma_f64 v[126:127], v[126:127], 2.0, -v[143:144]
	;; [unrolled: 1-line block ×8, first 2 shown]
	v_add_f64 v[156:157], v[141:142], -v[156:157]
	v_add_f64 v[145:146], v[143:144], v[145:146]
	v_add_f64 v[160:161], v[152:153], -v[160:161]
	v_add_f64 v[158:159], v[154:155], v[158:159]
	v_add_f64 v[132:133], v[124:125], -v[132:133]
	v_add_f64 v[134:135], v[126:127], -v[134:135]
	;; [unrolled: 1-line block ×4, first 2 shown]
	v_fma_f64 v[162:163], v[141:142], 2.0, -v[156:157]
	v_fma_f64 v[168:169], v[143:144], 2.0, -v[145:146]
	;; [unrolled: 1-line block ×4, first 2 shown]
	v_fma_f64 v[164:165], v[160:161], s[16:17], v[156:157]
	v_fma_f64 v[166:167], v[158:159], s[16:17], v[145:146]
	v_fma_f64 v[170:171], v[124:125], 2.0, -v[132:133]
	v_fma_f64 v[172:173], v[126:127], 2.0, -v[134:135]
	;; [unrolled: 1-line block ×4, first 2 shown]
	v_fma_f64 v[128:129], v[141:142], s[14:15], v[162:163]
	v_fma_f64 v[130:131], v[143:144], s[14:15], v[168:169]
	v_add_f64 v[152:153], v[132:133], -v[138:139]
	v_add_f64 v[154:155], v[134:135], v[136:137]
	v_fma_f64 v[164:165], v[158:159], s[14:15], v[164:165]
	v_fma_f64 v[166:167], v[160:161], s[16:17], v[166:167]
	v_add_f64 v[124:125], v[170:171], -v[124:125]
	v_add_f64 v[126:127], v[172:173], -v[126:127]
	v_fma_f64 v[128:129], v[143:144], s[14:15], v[128:129]
	v_fma_f64 v[130:131], v[141:142], s[16:17], v[130:131]
	v_fma_f64 v[132:133], v[132:133], 2.0, -v[152:153]
	v_fma_f64 v[134:135], v[134:135], 2.0, -v[154:155]
	;; [unrolled: 1-line block ×8, first 2 shown]
	ds_write_b128 v202, v[152:155] offset:7776
	ds_write_b128 v202, v[164:167] offset:9072
	;; [unrolled: 1-line block ×6, first 2 shown]
	ds_write_b128 v202, v[141:144]
	ds_write_b128 v202, v[156:159] offset:1296
	s_waitcnt lgkmcnt(0)
	s_barrier
	ds_read_b128 v[156:159], v185
	ds_read_b128 v[160:163], v185 offset:3888
	ds_read_b128 v[176:179], v185 offset:10368
	;; [unrolled: 1-line block ×5, first 2 shown]
	s_and_saveexec_b64 s[14:15], s[0:1]
	s_cbranch_execz .LBB0_21
; %bb.20:
	ds_read_b128 v[152:155], v185 offset:7776
	ds_read_b128 v[164:167], v185 offset:18144
	;; [unrolled: 1-line block ×3, first 2 shown]
.LBB0_21:
	s_or_b64 exec, exec, s[14:15]
	v_lshlrev_b32_e32 v124, 5, v188
	v_mov_b32_e32 v128, s5
	v_add_co_u32_e32 v126, vcc, s4, v124
	v_addc_co_u32_e32 v127, vcc, 0, v128, vcc
	s_movk_i32 s5, 0x2850
	v_add_co_u32_e32 v124, vcc, s5, v126
	v_addc_co_u32_e32 v125, vcc, 0, v127, vcc
	s_movk_i32 s12, 0x2000
	v_add_co_u32_e32 v126, vcc, s12, v126
	v_addc_co_u32_e32 v127, vcc, 0, v127, vcc
	global_load_dwordx4 v[132:135], v[126:127], off offset:2128
	global_load_dwordx4 v[136:139], v[124:125], off offset:16
	v_lshlrev_b32_e32 v124, 5, v140
	v_add_co_u32_e32 v126, vcc, s4, v124
	v_addc_co_u32_e32 v127, vcc, 0, v128, vcc
	v_add_co_u32_e32 v124, vcc, s5, v126
	v_addc_co_u32_e32 v125, vcc, 0, v127, vcc
	;; [unrolled: 2-line block ×3, first 2 shown]
	s_movk_i32 s14, 0xff5e
	global_load_dwordx4 v[140:143], v[126:127], off offset:2128
	global_load_dwordx4 v[144:147], v[124:125], off offset:16
	v_add_co_u32_e32 v124, vcc, s14, v188
	v_addc_co_u32_e64 v125, s[14:15], 0, -1, vcc
	v_cndmask_b32_e64 v125, v125, v204, s[0:1]
	v_cndmask_b32_e64 v124, v124, v203, s[0:1]
	v_lshlrev_b64 v[124:125], 5, v[124:125]
	s_mov_b32 s15, 0xbfebb67a
	v_add_co_u32_e32 v129, vcc, s4, v124
	v_addc_co_u32_e32 v130, vcc, v128, v125, vcc
	v_add_co_u32_e32 v124, vcc, s12, v129
	v_addc_co_u32_e32 v125, vcc, 0, v130, vcc
	;; [unrolled: 2-line block ×3, first 2 shown]
	global_load_dwordx4 v[124:127], v[124:125], off offset:2128
	s_mov_b32 s4, 0xe8584caa
	global_load_dwordx4 v[128:131], v[128:129], off offset:16
	s_mov_b32 s5, 0x3febb67a
	s_mov_b32 s14, s4
	s_waitcnt vmcnt(5) lgkmcnt(3)
	v_mul_f64 v[203:204], v[178:179], v[134:135]
	v_mul_f64 v[205:206], v[176:177], v[134:135]
	s_waitcnt vmcnt(4) lgkmcnt(1)
	v_mul_f64 v[207:208], v[182:183], v[138:139]
	v_mul_f64 v[209:210], v[180:181], v[138:139]
	v_fma_f64 v[176:177], v[176:177], v[132:133], -v[203:204]
	v_fma_f64 v[178:179], v[178:179], v[132:133], v[205:206]
	v_fma_f64 v[180:181], v[180:181], v[136:137], -v[207:208]
	v_fma_f64 v[182:183], v[182:183], v[136:137], v[209:210]
	s_waitcnt vmcnt(3)
	v_mul_f64 v[211:212], v[170:171], v[142:143]
	v_mul_f64 v[213:214], v[168:169], v[142:143]
	s_waitcnt vmcnt(2) lgkmcnt(0)
	v_mul_f64 v[215:216], v[174:175], v[146:147]
	v_mul_f64 v[217:218], v[172:173], v[146:147]
	v_add_f64 v[205:206], v[176:177], v[180:181]
	v_add_f64 v[207:208], v[178:179], -v[182:183]
	v_add_f64 v[209:210], v[158:159], v[178:179]
	v_add_f64 v[178:179], v[178:179], v[182:183]
	v_fma_f64 v[168:169], v[168:169], v[140:141], -v[211:212]
	v_fma_f64 v[170:171], v[170:171], v[140:141], v[213:214]
	v_fma_f64 v[172:173], v[172:173], v[144:145], -v[215:216]
	v_fma_f64 v[203:204], v[174:175], v[144:145], v[217:218]
	v_add_f64 v[174:175], v[156:157], v[176:177]
	v_add_f64 v[176:177], v[176:177], -v[180:181]
	v_fma_f64 v[156:157], v[205:206], -0.5, v[156:157]
	v_fma_f64 v[158:159], v[178:179], -0.5, v[158:159]
	v_add_f64 v[211:212], v[160:161], v[168:169]
	v_add_f64 v[217:218], v[162:163], v[170:171]
	v_add_f64 v[213:214], v[168:169], v[172:173]
	v_add_f64 v[215:216], v[170:171], -v[203:204]
	v_add_f64 v[170:171], v[170:171], v[203:204]
	s_waitcnt vmcnt(1)
	v_mul_f64 v[219:220], v[166:167], v[126:127]
	v_mul_f64 v[221:222], v[164:165], v[126:127]
	s_waitcnt vmcnt(0)
	v_mul_f64 v[223:224], v[150:151], v[130:131]
	v_mul_f64 v[225:226], v[148:149], v[130:131]
	v_fma_f64 v[178:179], v[213:214], -0.5, v[160:161]
	v_fma_f64 v[160:161], v[207:208], s[4:5], v[156:157]
	v_fma_f64 v[164:165], v[164:165], v[124:125], -v[219:220]
	v_fma_f64 v[166:167], v[166:167], v[124:125], v[221:222]
	v_fma_f64 v[148:149], v[148:149], v[128:129], -v[223:224]
	v_fma_f64 v[150:151], v[150:151], v[128:129], v[225:226]
	v_add_f64 v[219:220], v[168:169], -v[172:173]
	v_add_f64 v[168:169], v[211:212], v[172:173]
	v_fma_f64 v[172:173], v[207:208], s[14:15], v[156:157]
	v_add_f64 v[221:222], v[152:153], v[164:165]
	v_add_f64 v[227:228], v[154:155], v[166:167]
	;; [unrolled: 1-line block ×4, first 2 shown]
	v_add_f64 v[225:226], v[166:167], -v[150:151]
	v_add_f64 v[231:232], v[164:165], -v[148:149]
	v_add_f64 v[166:167], v[209:210], v[182:183]
	v_fma_f64 v[182:183], v[170:171], -0.5, v[162:163]
	v_add_f64 v[164:165], v[174:175], v[180:181]
	v_fma_f64 v[162:163], v[176:177], s[14:15], v[158:159]
	v_fma_f64 v[205:206], v[223:224], -0.5, v[152:153]
	v_fma_f64 v[209:210], v[229:230], -0.5, v[154:155]
	v_fma_f64 v[174:175], v[176:177], s[4:5], v[158:159]
	v_add_f64 v[148:149], v[221:222], v[148:149]
	v_add_f64 v[150:151], v[227:228], v[150:151]
	;; [unrolled: 1-line block ×3, first 2 shown]
	v_fma_f64 v[176:177], v[215:216], s[4:5], v[178:179]
	v_fma_f64 v[180:181], v[215:216], s[14:15], v[178:179]
	v_fma_f64 v[152:153], v[225:226], s[4:5], v[205:206]
	v_fma_f64 v[156:157], v[225:226], s[14:15], v[205:206]
	v_fma_f64 v[154:155], v[231:232], s[14:15], v[209:210]
	v_fma_f64 v[158:159], v[231:232], s[4:5], v[209:210]
	v_fma_f64 v[178:179], v[219:220], s[14:15], v[182:183]
	v_fma_f64 v[182:183], v[219:220], s[4:5], v[182:183]
	ds_write_b128 v185, v[164:167]
	ds_write_b128 v185, v[160:163] offset:10368
	ds_write_b128 v185, v[172:175] offset:20736
	;; [unrolled: 1-line block ×5, first 2 shown]
	s_and_saveexec_b64 s[4:5], s[0:1]
	s_cbranch_execz .LBB0_23
; %bb.22:
	ds_write_b128 v185, v[148:151] offset:7776
	ds_write_b128 v185, v[152:155] offset:18144
	;; [unrolled: 1-line block ×3, first 2 shown]
.LBB0_23:
	s_or_b64 exec, exec, s[4:5]
	v_mov_b32_e32 v160, s13
	v_addc_co_u32_e64 v182, vcc, 0, v160, s[2:3]
	s_movk_i32 s2, 0x7980
	v_add_co_u32_e32 v160, vcc, s2, v186
	s_movk_i32 s4, 0x7000
	s_mov_b64 s[2:3], vcc
	v_add_co_u32_e32 v178, vcc, s4, v186
	v_addc_co_u32_e32 v179, vcc, 0, v182, vcc
	s_mov_b32 s4, 0xa000
	v_add_co_u32_e32 v161, vcc, s4, v186
	v_addc_co_u32_e32 v162, vcc, 0, v182, vcc
	s_mov_b32 s4, 0xc000
	;; [unrolled: 3-line block ×4, first 2 shown]
	s_waitcnt lgkmcnt(0)
	s_barrier
	global_load_dwordx4 v[162:165], v[161:162], off offset:512
	s_nop 0
	global_load_dwordx4 v[166:169], v[166:167], off offset:2688
	v_add_co_u32_e32 v174, vcc, s4, v186
	global_load_dwordx4 v[170:173], v[170:171], off offset:304
	v_addc_co_u32_e32 v175, vcc, 0, v182, vcc
	global_load_dwordx4 v[174:177], v[174:175], off offset:2480
	s_nop 0
	global_load_dwordx4 v[178:181], v[178:179], off offset:2432
	v_addc_co_u32_e64 v161, vcc, 0, v182, s[2:3]
	global_load_dwordx4 v[203:206], v[160:161], off offset:3888
	ds_read_b128 v[207:210], v185 offset:10368
	ds_read_b128 v[211:214], v185 offset:20736
	ds_read_b128 v[215:218], v185
	ds_read_b128 v[219:222], v185 offset:3888
	ds_read_b128 v[223:226], v185 offset:14256
	ds_read_b128 v[227:230], v185 offset:24624
	s_waitcnt vmcnt(5) lgkmcnt(5)
	v_mul_f64 v[182:183], v[209:210], v[164:165]
	v_mul_f64 v[164:165], v[207:208], v[164:165]
	s_waitcnt vmcnt(4) lgkmcnt(4)
	v_mul_f64 v[231:232], v[213:214], v[168:169]
	v_mul_f64 v[168:169], v[211:212], v[168:169]
	;; [unrolled: 3-line block ×4, first 2 shown]
	s_waitcnt vmcnt(1)
	v_mul_f64 v[176:177], v[217:218], v[180:181]
	v_mul_f64 v[239:240], v[215:216], v[180:181]
	s_waitcnt vmcnt(0)
	v_mul_f64 v[241:242], v[221:222], v[205:206]
	v_mul_f64 v[243:244], v[219:220], v[205:206]
	v_fma_f64 v[180:181], v[207:208], v[162:163], -v[182:183]
	v_fma_f64 v[182:183], v[209:210], v[162:163], v[164:165]
	v_fma_f64 v[162:163], v[211:212], v[166:167], -v[231:232]
	v_fma_f64 v[164:165], v[213:214], v[166:167], v[168:169]
	;; [unrolled: 2-line block ×6, first 2 shown]
	ds_write_b128 v185, v[180:183] offset:10368
	ds_write_b128 v185, v[162:165] offset:20736
	;; [unrolled: 1-line block ×3, first 2 shown]
	ds_write_b128 v185, v[176:179]
	ds_write_b128 v185, v[205:208] offset:3888
	ds_write_b128 v185, v[170:173] offset:24624
	s_and_saveexec_b64 s[2:3], s[0:1]
	s_cbranch_execz .LBB0_25
; %bb.24:
	v_add_co_u32_e32 v162, vcc, 0x1000, v160
	v_addc_co_u32_e32 v163, vcc, 0, v161, vcc
	s_movk_i32 s4, 0x4000
	v_add_co_u32_e32 v166, vcc, s4, v160
	v_addc_co_u32_e32 v167, vcc, 0, v161, vcc
	s_movk_i32 s4, 0x6000
	v_add_co_u32_e32 v160, vcc, s4, v160
	global_load_dwordx4 v[162:165], v[162:163], off offset:3680
	s_nop 0
	global_load_dwordx4 v[166:169], v[166:167], off offset:1760
	v_addc_co_u32_e32 v161, vcc, 0, v161, vcc
	global_load_dwordx4 v[170:173], v[160:161], off offset:3936
	ds_read_b128 v[174:177], v185 offset:7776
	ds_read_b128 v[178:181], v185 offset:18144
	;; [unrolled: 1-line block ×3, first 2 shown]
	s_waitcnt vmcnt(2) lgkmcnt(2)
	v_mul_f64 v[160:161], v[176:177], v[164:165]
	v_mul_f64 v[164:165], v[174:175], v[164:165]
	s_waitcnt vmcnt(1) lgkmcnt(1)
	v_mul_f64 v[182:183], v[180:181], v[168:169]
	v_mul_f64 v[168:169], v[178:179], v[168:169]
	;; [unrolled: 3-line block ×3, first 2 shown]
	v_fma_f64 v[160:161], v[174:175], v[162:163], -v[160:161]
	v_fma_f64 v[162:163], v[176:177], v[162:163], v[164:165]
	v_fma_f64 v[164:165], v[178:179], v[166:167], -v[182:183]
	v_fma_f64 v[166:167], v[180:181], v[166:167], v[168:169]
	;; [unrolled: 2-line block ×3, first 2 shown]
	ds_write_b128 v185, v[160:163] offset:7776
	ds_write_b128 v185, v[164:167] offset:18144
	;; [unrolled: 1-line block ×3, first 2 shown]
.LBB0_25:
	s_or_b64 exec, exec, s[2:3]
	s_waitcnt lgkmcnt(0)
	s_barrier
	ds_read_b128 v[176:179], v185
	ds_read_b128 v[164:167], v185 offset:3888
	ds_read_b128 v[180:183], v185 offset:10368
	;; [unrolled: 1-line block ×5, first 2 shown]
	s_and_saveexec_b64 s[2:3], s[0:1]
	s_cbranch_execz .LBB0_27
; %bb.26:
	ds_read_b128 v[148:151], v185 offset:7776
	ds_read_b128 v[152:155], v185 offset:18144
	;; [unrolled: 1-line block ×3, first 2 shown]
.LBB0_27:
	s_or_b64 exec, exec, s[2:3]
	s_waitcnt lgkmcnt(1)
	v_add_f64 v[203:204], v[180:181], v[172:173]
	v_add_f64 v[205:206], v[176:177], v[180:181]
	;; [unrolled: 1-line block ×3, first 2 shown]
	s_waitcnt lgkmcnt(0)
	v_add_f64 v[211:212], v[168:169], v[160:161]
	v_add_f64 v[207:208], v[182:183], -v[174:175]
	v_add_f64 v[182:183], v[178:179], v[182:183]
	v_add_f64 v[213:214], v[180:181], -v[172:173]
	s_mov_b32 s2, 0xe8584caa
	v_fma_f64 v[203:204], v[203:204], -0.5, v[176:177]
	v_add_f64 v[172:173], v[205:206], v[172:173]
	v_fma_f64 v[209:210], v[209:210], -0.5, v[178:179]
	v_fma_f64 v[205:206], v[211:212], -0.5, v[164:165]
	v_add_f64 v[211:212], v[170:171], -v[162:163]
	s_mov_b32 s3, 0xbfebb67a
	s_mov_b32 s5, 0x3febb67a
	;; [unrolled: 1-line block ×3, first 2 shown]
	v_add_f64 v[215:216], v[164:165], v[168:169]
	v_fma_f64 v[176:177], v[207:208], s[2:3], v[203:204]
	v_fma_f64 v[180:181], v[207:208], s[4:5], v[203:204]
	v_add_f64 v[174:175], v[182:183], v[174:175]
	v_fma_f64 v[178:179], v[213:214], s[4:5], v[209:210]
	v_add_f64 v[217:218], v[170:171], v[162:163]
	;; [unrolled: 2-line block ×3, first 2 shown]
	v_fma_f64 v[203:204], v[211:212], s[2:3], v[205:206]
	v_fma_f64 v[207:208], v[211:212], s[4:5], v[205:206]
	v_add_f64 v[205:206], v[154:155], v[158:159]
	v_add_f64 v[164:165], v[215:216], v[160:161]
	;; [unrolled: 1-line block ×3, first 2 shown]
	v_fma_f64 v[211:212], v[217:218], -0.5, v[166:167]
	v_add_f64 v[160:161], v[168:169], -v[160:161]
	v_add_f64 v[168:169], v[152:153], v[148:149]
	v_fma_f64 v[213:214], v[209:210], -0.5, v[148:149]
	v_add_f64 v[215:216], v[154:155], -v[158:159]
	v_add_f64 v[154:155], v[154:155], v[150:151]
	;; [unrolled: 3-line block ×3, first 2 shown]
	v_fma_f64 v[205:206], v[160:161], s[4:5], v[211:212]
	v_fma_f64 v[209:210], v[160:161], s[2:3], v[211:212]
	v_add_f64 v[148:149], v[156:157], v[168:169]
	v_fma_f64 v[160:161], v[215:216], s[2:3], v[213:214]
	v_fma_f64 v[156:157], v[215:216], s[4:5], v[213:214]
	v_add_f64 v[150:151], v[158:159], v[154:155]
	v_fma_f64 v[162:163], v[152:153], s[4:5], v[217:218]
	v_fma_f64 v[158:159], v[152:153], s[2:3], v[217:218]
	s_barrier
	ds_write_b128 v189, v[172:175]
	ds_write_b128 v189, v[176:179] offset:16
	ds_write_b128 v189, v[180:183] offset:32
	ds_write_b128 v190, v[164:167]
	ds_write_b128 v190, v[203:206] offset:16
	ds_write_b128 v190, v[207:210] offset:32
	s_and_saveexec_b64 s[2:3], s[0:1]
	s_cbranch_execz .LBB0_29
; %bb.28:
	v_lshlrev_b32_e32 v152, 4, v191
	ds_write_b128 v152, v[148:151]
	ds_write_b128 v152, v[160:163] offset:16
	ds_write_b128 v152, v[156:159] offset:32
.LBB0_29:
	s_or_b64 exec, exec, s[2:3]
	s_waitcnt lgkmcnt(0)
	s_barrier
	ds_read_b128 v[164:167], v185
	ds_read_b128 v[152:155], v185 offset:3888
	ds_read_b128 v[176:179], v185 offset:10368
	;; [unrolled: 1-line block ×5, first 2 shown]
	s_and_saveexec_b64 s[2:3], s[0:1]
	s_cbranch_execz .LBB0_31
; %bb.30:
	ds_read_b128 v[148:151], v185 offset:7776
	ds_read_b128 v[160:163], v185 offset:18144
	;; [unrolled: 1-line block ×3, first 2 shown]
.LBB0_31:
	s_or_b64 exec, exec, s[2:3]
	s_waitcnt lgkmcnt(3)
	v_mul_f64 v[189:190], v[30:31], v[178:179]
	s_waitcnt lgkmcnt(1)
	v_mul_f64 v[203:204], v[26:27], v[182:183]
	v_mul_f64 v[30:31], v[30:31], v[176:177]
	;; [unrolled: 1-line block ×5, first 2 shown]
	s_waitcnt lgkmcnt(0)
	v_mul_f64 v[207:208], v[34:35], v[174:175]
	v_mul_f64 v[34:35], v[34:35], v[172:173]
	v_fma_f64 v[176:177], v[28:29], v[176:177], v[189:190]
	v_fma_f64 v[180:181], v[24:25], v[180:181], v[203:204]
	v_mul_f64 v[189:190], v[46:47], v[162:163]
	v_mul_f64 v[46:47], v[46:47], v[160:161]
	;; [unrolled: 1-line block ×4, first 2 shown]
	v_fma_f64 v[30:31], v[28:29], v[178:179], -v[30:31]
	v_fma_f64 v[24:25], v[24:25], v[182:183], -v[26:27]
	v_fma_f64 v[168:169], v[36:37], v[168:169], v[205:206]
	v_add_f64 v[26:27], v[176:177], v[180:181]
	v_fma_f64 v[36:37], v[36:37], v[170:171], -v[38:39]
	v_fma_f64 v[38:39], v[32:33], v[172:173], v[207:208]
	v_fma_f64 v[32:33], v[32:33], v[174:175], -v[34:35]
	v_add_f64 v[28:29], v[164:165], v[176:177]
	v_fma_f64 v[34:35], v[44:45], v[160:161], v[189:190]
	v_fma_f64 v[162:163], v[44:45], v[162:163], -v[46:47]
	v_add_f64 v[44:45], v[30:31], -v[24:25]
	v_fma_f64 v[26:27], v[26:27], -0.5, v[164:165]
	v_fma_f64 v[164:165], v[40:41], v[156:157], v[203:204]
	v_add_f64 v[46:47], v[30:31], v[24:25]
	v_fma_f64 v[170:171], v[40:41], v[158:159], -v[42:43]
	v_add_f64 v[42:43], v[168:169], v[38:39]
	v_add_f64 v[30:31], v[166:167], v[30:31]
	;; [unrolled: 1-line block ×3, first 2 shown]
	s_mov_b32 s2, 0xe8584caa
	s_mov_b32 s3, 0xbfebb67a
	;; [unrolled: 1-line block ×3, first 2 shown]
	v_fma_f64 v[40:41], v[44:45], s[2:3], v[26:27]
	v_fma_f64 v[46:47], v[46:47], -0.5, v[166:167]
	v_add_f64 v[156:157], v[176:177], -v[180:181]
	v_fma_f64 v[160:161], v[42:43], -0.5, v[152:153]
	v_add_f64 v[166:167], v[36:37], -v[32:33]
	v_fma_f64 v[44:45], v[44:45], s[4:5], v[26:27]
	v_add_f64 v[30:31], v[30:31], v[24:25]
	v_add_f64 v[24:25], v[36:37], v[32:33]
	;; [unrolled: 1-line block ×5, first 2 shown]
	v_fma_f64 v[42:43], v[156:157], s[4:5], v[46:47]
	v_fma_f64 v[46:47], v[156:157], s[2:3], v[46:47]
	;; [unrolled: 1-line block ×4, first 2 shown]
	v_add_f64 v[36:37], v[154:155], v[36:37]
	v_fma_f64 v[24:25], v[24:25], -0.5, v[154:155]
	v_add_f64 v[38:39], v[168:169], -v[38:39]
	v_add_f64 v[166:167], v[34:35], v[148:149]
	v_fma_f64 v[26:27], v[26:27], -0.5, v[148:149]
	v_add_f64 v[148:149], v[162:163], -v[170:171]
	;; [unrolled: 3-line block ×3, first 2 shown]
	v_add_f64 v[28:29], v[28:29], v[180:181]
	v_add_f64 v[154:155], v[36:37], v[32:33]
	v_fma_f64 v[158:159], v[38:39], s[4:5], v[24:25]
	v_fma_f64 v[162:163], v[38:39], s[2:3], v[24:25]
	v_add_f64 v[24:25], v[166:167], v[164:165]
	v_fma_f64 v[36:37], v[148:149], s[2:3], v[26:27]
	v_fma_f64 v[32:33], v[148:149], s[4:5], v[26:27]
	;; [unrolled: 3-line block ×3, first 2 shown]
	s_barrier
	ds_write_b128 v193, v[28:31]
	ds_write_b128 v193, v[40:43] offset:48
	ds_write_b128 v193, v[44:47] offset:96
	ds_write_b128 v192, v[152:155]
	ds_write_b128 v192, v[156:159] offset:48
	ds_write_b128 v192, v[160:163] offset:96
	s_and_saveexec_b64 s[2:3], s[0:1]
	s_cbranch_execz .LBB0_33
; %bb.32:
	v_lshlrev_b32_e32 v28, 4, v194
	ds_write_b128 v28, v[24:27]
	ds_write_b128 v28, v[36:39] offset:48
	ds_write_b128 v28, v[32:35] offset:96
.LBB0_33:
	s_or_b64 exec, exec, s[2:3]
	s_waitcnt lgkmcnt(0)
	s_barrier
	ds_read_b128 v[40:43], v185
	ds_read_b128 v[28:31], v185 offset:3888
	ds_read_b128 v[152:155], v185 offset:10368
	;; [unrolled: 1-line block ×5, first 2 shown]
	s_and_saveexec_b64 s[2:3], s[0:1]
	s_cbranch_execz .LBB0_35
; %bb.34:
	ds_read_b128 v[24:27], v185 offset:7776
	ds_read_b128 v[36:39], v185 offset:18144
	;; [unrolled: 1-line block ×3, first 2 shown]
.LBB0_35:
	s_or_b64 exec, exec, s[2:3]
	s_waitcnt lgkmcnt(3)
	v_mul_f64 v[160:161], v[54:55], v[154:155]
	s_waitcnt lgkmcnt(1)
	v_mul_f64 v[162:163], v[50:51], v[158:159]
	v_mul_f64 v[54:55], v[54:55], v[152:153]
	;; [unrolled: 1-line block ×5, first 2 shown]
	s_waitcnt lgkmcnt(0)
	v_mul_f64 v[166:167], v[58:59], v[150:151]
	v_mul_f64 v[58:59], v[58:59], v[148:149]
	v_fma_f64 v[152:153], v[52:53], v[152:153], v[160:161]
	v_fma_f64 v[156:157], v[48:49], v[156:157], v[162:163]
	v_mul_f64 v[160:161], v[70:71], v[38:39]
	v_mul_f64 v[70:71], v[70:71], v[36:37]
	v_fma_f64 v[52:53], v[52:53], v[154:155], -v[54:55]
	v_fma_f64 v[48:49], v[48:49], v[158:159], -v[50:51]
	v_fma_f64 v[54:55], v[60:61], v[44:45], v[164:165]
	v_fma_f64 v[60:61], v[60:61], v[46:47], -v[62:63]
	v_fma_f64 v[62:63], v[56:57], v[148:149], v[166:167]
	v_add_f64 v[50:51], v[152:153], v[156:157]
	v_add_f64 v[44:45], v[40:41], v[152:153]
	v_mul_f64 v[162:163], v[66:67], v[34:35]
	v_mul_f64 v[66:67], v[66:67], v[32:33]
	v_fma_f64 v[58:59], v[56:57], v[150:151], -v[58:59]
	v_fma_f64 v[148:149], v[68:69], v[36:37], v[160:161]
	v_fma_f64 v[68:69], v[68:69], v[38:39], -v[70:71]
	v_add_f64 v[46:47], v[52:53], -v[48:49]
	v_fma_f64 v[38:39], v[50:51], -0.5, v[40:41]
	v_add_f64 v[50:51], v[52:53], v[48:49]
	v_add_f64 v[36:37], v[44:45], v[156:157]
	;; [unrolled: 1-line block ×3, first 2 shown]
	v_fma_f64 v[32:33], v[64:65], v[32:33], v[162:163]
	v_fma_f64 v[34:35], v[64:65], v[34:35], -v[66:67]
	v_add_f64 v[52:53], v[42:43], v[52:53]
	v_add_f64 v[56:57], v[152:153], -v[156:157]
	v_add_f64 v[64:65], v[28:29], v[54:55]
	v_fma_f64 v[50:51], v[50:51], -0.5, v[42:43]
	v_add_f64 v[66:67], v[60:61], -v[58:59]
	v_fma_f64 v[28:29], v[44:45], -0.5, v[28:29]
	s_mov_b32 s2, 0xe8584caa
	s_mov_b32 s3, 0xbfebb67a
	;; [unrolled: 1-line block ×3, first 2 shown]
	v_fma_f64 v[40:41], v[46:47], s[2:3], v[38:39]
	v_fma_f64 v[44:45], v[46:47], s[4:5], v[38:39]
	v_add_f64 v[38:39], v[52:53], v[48:49]
	v_fma_f64 v[42:43], v[56:57], s[4:5], v[50:51]
	v_add_f64 v[70:71], v[60:61], v[58:59]
	;; [unrolled: 2-line block ×3, first 2 shown]
	v_fma_f64 v[52:53], v[66:67], s[2:3], v[28:29]
	v_fma_f64 v[56:57], v[66:67], s[4:5], v[28:29]
	v_add_f64 v[28:29], v[68:69], v[34:35]
	v_add_f64 v[48:49], v[64:65], v[62:63]
	;; [unrolled: 1-line block ×3, first 2 shown]
	v_fma_f64 v[30:31], v[70:71], -0.5, v[30:31]
	v_add_f64 v[62:63], v[54:55], -v[62:63]
	v_add_f64 v[64:65], v[148:149], v[24:25]
	v_fma_f64 v[66:67], v[50:51], -0.5, v[24:25]
	v_add_f64 v[70:71], v[68:69], -v[34:35]
	v_add_f64 v[68:69], v[68:69], v[26:27]
	;; [unrolled: 3-line block ×3, first 2 shown]
	v_fma_f64 v[54:55], v[62:63], s[4:5], v[30:31]
	v_fma_f64 v[58:59], v[62:63], s[2:3], v[30:31]
	v_add_f64 v[28:29], v[64:65], v[32:33]
	v_fma_f64 v[24:25], v[70:71], s[2:3], v[66:67]
	v_fma_f64 v[32:33], v[70:71], s[4:5], v[66:67]
	v_add_f64 v[30:31], v[34:35], v[68:69]
	v_fma_f64 v[26:27], v[148:149], s[4:5], v[150:151]
	v_fma_f64 v[34:35], v[148:149], s[2:3], v[150:151]
	s_barrier
	ds_write_b128 v198, v[36:39]
	ds_write_b128 v198, v[40:43] offset:144
	ds_write_b128 v198, v[44:47] offset:288
	ds_write_b128 v197, v[48:51]
	ds_write_b128 v197, v[52:55] offset:144
	ds_write_b128 v197, v[56:59] offset:288
	s_and_saveexec_b64 s[2:3], s[0:1]
	s_cbranch_execz .LBB0_37
; %bb.36:
	v_lshlrev_b32_e32 v36, 4, v199
	ds_write_b128 v36, v[28:31]
	ds_write_b128 v36, v[24:27] offset:144
	ds_write_b128 v36, v[32:35] offset:288
.LBB0_37:
	s_or_b64 exec, exec, s[2:3]
	s_waitcnt lgkmcnt(0)
	s_barrier
	ds_read_b128 v[40:43], v185
	ds_read_b128 v[36:39], v185 offset:3888
	ds_read_b128 v[52:55], v185 offset:10368
	;; [unrolled: 1-line block ×5, first 2 shown]
	s_and_saveexec_b64 s[2:3], s[0:1]
	s_cbranch_execz .LBB0_39
; %bb.38:
	ds_read_b128 v[28:31], v185 offset:7776
	ds_read_b128 v[24:27], v185 offset:18144
	;; [unrolled: 1-line block ×3, first 2 shown]
.LBB0_39:
	s_or_b64 exec, exec, s[2:3]
	s_waitcnt lgkmcnt(3)
	v_mul_f64 v[60:61], v[78:79], v[54:55]
	v_mul_f64 v[62:63], v[78:79], v[52:53]
	s_waitcnt lgkmcnt(1)
	v_mul_f64 v[64:65], v[74:75], v[58:59]
	v_mul_f64 v[66:67], v[74:75], v[56:57]
	;; [unrolled: 1-line block ×4, first 2 shown]
	s_waitcnt lgkmcnt(0)
	v_mul_f64 v[74:75], v[82:83], v[46:47]
	s_mov_b32 s4, 0xe8584caa
	v_fma_f64 v[52:53], v[76:77], v[52:53], v[60:61]
	v_fma_f64 v[54:55], v[76:77], v[54:55], -v[62:63]
	v_fma_f64 v[56:57], v[72:73], v[56:57], v[64:65]
	v_fma_f64 v[58:59], v[72:73], v[58:59], -v[66:67]
	v_mul_f64 v[60:61], v[82:83], v[44:45]
	v_fma_f64 v[62:63], v[92:93], v[48:49], v[68:69]
	v_mul_f64 v[48:49], v[90:91], v[26:27]
	v_fma_f64 v[64:65], v[92:93], v[50:51], -v[70:71]
	v_fma_f64 v[66:67], v[80:81], v[44:45], v[74:75]
	v_mul_f64 v[50:51], v[90:91], v[24:25]
	v_mul_f64 v[68:69], v[86:87], v[34:35]
	v_add_f64 v[70:71], v[52:53], v[56:57]
	v_fma_f64 v[72:73], v[80:81], v[46:47], -v[60:61]
	v_mul_f64 v[60:61], v[86:87], v[32:33]
	v_fma_f64 v[44:45], v[88:89], v[24:25], v[48:49]
	v_add_f64 v[24:25], v[54:55], v[58:59]
	v_add_f64 v[74:75], v[40:41], v[52:53]
	v_fma_f64 v[46:47], v[88:89], v[26:27], -v[50:51]
	v_fma_f64 v[32:33], v[84:85], v[32:33], v[68:69]
	v_fma_f64 v[26:27], v[70:71], -0.5, v[40:41]
	v_add_f64 v[40:41], v[54:55], -v[58:59]
	v_fma_f64 v[34:35], v[84:85], v[34:35], -v[60:61]
	v_add_f64 v[50:51], v[42:43], v[54:55]
	v_fma_f64 v[24:25], v[24:25], -0.5, v[42:43]
	v_add_f64 v[42:43], v[52:53], -v[56:57]
	s_mov_b32 s5, 0xbfebb67a
	s_mov_b32 s3, 0x3febb67a
	s_mov_b32 s2, s4
	v_add_f64 v[48:49], v[74:75], v[56:57]
	v_fma_f64 v[52:53], v[40:41], s[4:5], v[26:27]
	v_fma_f64 v[56:57], v[40:41], s[2:3], v[26:27]
	v_add_f64 v[26:27], v[62:63], v[66:67]
	v_add_f64 v[50:51], v[50:51], v[58:59]
	v_fma_f64 v[54:55], v[42:43], s[2:3], v[24:25]
	v_add_f64 v[40:41], v[64:65], v[72:73]
	v_fma_f64 v[58:59], v[42:43], s[4:5], v[24:25]
	v_add_f64 v[24:25], v[44:45], v[32:33]
	v_add_f64 v[42:43], v[46:47], v[34:35]
	;; [unrolled: 1-line block ×3, first 2 shown]
	v_fma_f64 v[26:27], v[26:27], -0.5, v[36:37]
	v_add_f64 v[68:69], v[64:65], -v[72:73]
	v_add_f64 v[70:71], v[38:39], v[64:65]
	v_fma_f64 v[74:75], v[40:41], -0.5, v[38:39]
	v_add_f64 v[40:41], v[46:47], -v[34:35]
	v_fma_f64 v[36:37], v[24:25], -0.5, v[28:29]
	v_fma_f64 v[38:39], v[42:43], -0.5, v[30:31]
	v_add_f64 v[42:43], v[44:45], -v[32:33]
	v_add_f64 v[76:77], v[62:63], -v[66:67]
	v_fma_f64 v[64:65], v[68:69], s[4:5], v[26:27]
	v_fma_f64 v[68:69], v[68:69], s[2:3], v[26:27]
	v_add_f64 v[60:61], v[60:61], v[66:67]
	v_add_f64 v[62:63], v[70:71], v[72:73]
	v_fma_f64 v[24:25], v[40:41], s[2:3], v[36:37]
	v_fma_f64 v[26:27], v[42:43], s[4:5], v[38:39]
	;; [unrolled: 1-line block ×4, first 2 shown]
	s_barrier
	ds_write_b128 v200, v[48:51]
	ds_write_b128 v200, v[52:55] offset:432
	ds_write_b128 v200, v[56:59] offset:864
	ds_write_b128 v201, v[60:63]
	ds_write_b128 v201, v[64:67] offset:432
	ds_write_b128 v201, v[68:71] offset:864
	s_and_saveexec_b64 s[4:5], s[0:1]
	s_cbranch_execz .LBB0_41
; %bb.40:
	v_add_f64 v[46:47], v[46:47], v[30:31]
	v_add_f64 v[28:29], v[44:45], v[28:29]
	v_mul_f64 v[42:43], v[42:43], s[2:3]
	v_mul_f64 v[40:41], v[40:41], s[2:3]
	s_movk_i32 s2, 0x51
	v_add_f64 v[34:35], v[34:35], v[46:47]
	v_add_f64 v[32:33], v[28:29], v[32:33]
	;; [unrolled: 1-line block ×3, first 2 shown]
	v_add_f64 v[28:29], v[36:37], -v[40:41]
	v_mad_legacy_u16 v36, v195, s2, v196
	v_lshlrev_b32_e32 v36, 4, v36
	ds_write_b128 v36, v[32:35]
	ds_write_b128 v36, v[28:31] offset:432
	ds_write_b128 v36, v[24:27] offset:864
.LBB0_41:
	s_or_b64 exec, exec, s[4:5]
	s_waitcnt lgkmcnt(0)
	s_barrier
	ds_read_b128 v[28:31], v185
	ds_read_b128 v[32:35], v185 offset:3888
	ds_read_b128 v[36:39], v185 offset:7776
	;; [unrolled: 1-line block ×5, first 2 shown]
	s_waitcnt lgkmcnt(4)
	v_mul_f64 v[60:61], v[110:111], v[34:35]
	v_mul_f64 v[62:63], v[110:111], v[32:33]
	s_waitcnt lgkmcnt(3)
	v_mul_f64 v[64:65], v[106:107], v[38:39]
	v_mul_f64 v[66:67], v[106:107], v[36:37]
	;; [unrolled: 3-line block ×3, first 2 shown]
	ds_read_b128 v[52:55], v185 offset:23328
	ds_read_b128 v[56:59], v185 offset:27216
	s_mov_b32 s2, 0x667f3bcd
	v_fma_f64 v[32:33], v[108:109], v[32:33], v[60:61]
	v_fma_f64 v[34:35], v[108:109], v[34:35], -v[62:63]
	v_fma_f64 v[36:37], v[104:105], v[36:37], v[64:65]
	v_fma_f64 v[38:39], v[104:105], v[38:39], -v[66:67]
	;; [unrolled: 2-line block ×3, first 2 shown]
	s_waitcnt lgkmcnt(3)
	v_mul_f64 v[60:61], v[98:99], v[46:47]
	v_mul_f64 v[62:63], v[98:99], v[44:45]
	s_waitcnt lgkmcnt(1)
	v_mul_f64 v[64:65], v[122:123], v[54:55]
	v_mul_f64 v[66:67], v[122:123], v[52:53]
	;; [unrolled: 1-line block ×4, first 2 shown]
	s_waitcnt lgkmcnt(0)
	v_mul_f64 v[72:73], v[114:115], v[58:59]
	v_mul_f64 v[74:75], v[114:115], v[56:57]
	v_fma_f64 v[44:45], v[96:97], v[44:45], v[60:61]
	v_fma_f64 v[46:47], v[96:97], v[46:47], -v[62:63]
	v_fma_f64 v[52:53], v[120:121], v[52:53], v[64:65]
	v_fma_f64 v[54:55], v[120:121], v[54:55], -v[66:67]
	;; [unrolled: 2-line block ×4, first 2 shown]
	v_add_f64 v[44:45], v[28:29], -v[44:45]
	v_add_f64 v[46:47], v[30:31], -v[46:47]
	;; [unrolled: 1-line block ×8, first 2 shown]
	v_fma_f64 v[28:29], v[28:29], 2.0, -v[44:45]
	v_fma_f64 v[30:31], v[30:31], 2.0, -v[46:47]
	;; [unrolled: 1-line block ×8, first 2 shown]
	v_add_f64 v[60:61], v[44:45], v[54:55]
	v_add_f64 v[62:63], v[46:47], -v[52:53]
	v_add_f64 v[52:53], v[48:49], v[58:59]
	v_add_f64 v[54:55], v[50:51], -v[56:57]
	v_add_f64 v[56:57], v[28:29], -v[36:37]
	;; [unrolled: 1-line block ×5, first 2 shown]
	v_fma_f64 v[68:69], v[44:45], 2.0, -v[60:61]
	v_fma_f64 v[70:71], v[46:47], 2.0, -v[62:63]
	;; [unrolled: 1-line block ×8, first 2 shown]
	s_mov_b32 s3, 0xbfe6a09e
	s_mov_b32 s5, 0x3fe6a09e
	v_fma_f64 v[32:33], v[42:43], s[2:3], v[68:69]
	v_fma_f64 v[34:35], v[40:41], s[2:3], v[70:71]
	s_mov_b32 s4, s2
	v_fma_f64 v[48:49], v[52:53], s[4:5], v[60:61]
	v_fma_f64 v[50:51], v[54:55], s[4:5], v[62:63]
	v_add_f64 v[36:37], v[44:45], -v[28:29]
	v_add_f64 v[38:39], v[46:47], -v[30:31]
	v_add_f64 v[28:29], v[56:57], v[66:67]
	v_fma_f64 v[40:41], v[40:41], s[4:5], v[32:33]
	v_fma_f64 v[42:43], v[42:43], s[2:3], v[34:35]
	v_add_f64 v[30:31], v[58:59], -v[64:65]
	v_fma_f64 v[32:33], v[54:55], s[4:5], v[48:49]
	v_fma_f64 v[34:35], v[52:53], s[2:3], v[50:51]
	v_fma_f64 v[44:45], v[44:45], 2.0, -v[36:37]
	v_fma_f64 v[46:47], v[46:47], 2.0, -v[38:39]
	;; [unrolled: 1-line block ×8, first 2 shown]
	s_barrier
	ds_write_b128 v202, v[44:47]
	ds_write_b128 v202, v[48:51] offset:1296
	ds_write_b128 v202, v[52:55] offset:2592
	;; [unrolled: 1-line block ×7, first 2 shown]
	s_waitcnt lgkmcnt(0)
	s_barrier
	ds_read_b128 v[40:43], v185
	ds_read_b128 v[36:39], v185 offset:3888
	ds_read_b128 v[52:55], v185 offset:10368
	;; [unrolled: 1-line block ×5, first 2 shown]
	s_and_saveexec_b64 s[2:3], s[0:1]
	s_cbranch_execz .LBB0_43
; %bb.42:
	ds_read_b128 v[28:31], v185 offset:7776
	ds_read_b128 v[32:35], v185 offset:18144
	;; [unrolled: 1-line block ×3, first 2 shown]
.LBB0_43:
	s_or_b64 exec, exec, s[2:3]
	s_waitcnt lgkmcnt(3)
	v_mul_f64 v[60:61], v[134:135], v[54:55]
	s_waitcnt lgkmcnt(1)
	v_mul_f64 v[62:63], v[138:139], v[58:59]
	v_mul_f64 v[64:65], v[134:135], v[52:53]
	;; [unrolled: 1-line block ×5, first 2 shown]
	s_mov_b32 s2, 0xe8584caa
	s_mov_b32 s3, 0xbfebb67a
	v_fma_f64 v[52:53], v[132:133], v[52:53], v[60:61]
	v_fma_f64 v[56:57], v[136:137], v[56:57], v[62:63]
	s_waitcnt lgkmcnt(0)
	v_mul_f64 v[60:61], v[146:147], v[50:51]
	v_mul_f64 v[62:63], v[146:147], v[48:49]
	v_fma_f64 v[54:55], v[132:133], v[54:55], -v[64:65]
	v_fma_f64 v[58:59], v[136:137], v[58:59], -v[66:67]
	v_fma_f64 v[66:67], v[140:141], v[44:45], v[68:69]
	v_fma_f64 v[46:47], v[140:141], v[46:47], -v[70:71]
	v_add_f64 v[44:45], v[40:41], v[52:53]
	v_add_f64 v[64:65], v[52:53], v[56:57]
	v_fma_f64 v[60:61], v[144:145], v[48:49], v[60:61]
	v_fma_f64 v[62:63], v[144:145], v[50:51], -v[62:63]
	v_add_f64 v[52:53], v[52:53], -v[56:57]
	v_add_f64 v[50:51], v[54:55], v[58:59]
	v_add_f64 v[48:49], v[54:55], -v[58:59]
	v_add_f64 v[54:55], v[42:43], v[54:55]
	s_mov_b32 s5, 0x3febb67a
	v_fma_f64 v[64:65], v[64:65], -0.5, v[40:41]
	v_add_f64 v[68:69], v[66:67], v[60:61]
	v_add_f64 v[70:71], v[46:47], v[62:63]
	s_mov_b32 s4, s2
	v_fma_f64 v[50:51], v[50:51], -0.5, v[42:43]
	v_add_f64 v[40:41], v[44:45], v[56:57]
	v_add_f64 v[56:57], v[36:37], v[66:67]
	;; [unrolled: 1-line block ×3, first 2 shown]
	v_fma_f64 v[44:45], v[48:49], s[2:3], v[64:65]
	v_fma_f64 v[48:49], v[48:49], s[4:5], v[64:65]
	v_fma_f64 v[64:65], v[68:69], -0.5, v[36:37]
	v_add_f64 v[68:69], v[46:47], -v[62:63]
	v_fma_f64 v[70:71], v[70:71], -0.5, v[38:39]
	v_add_f64 v[66:67], v[66:67], -v[60:61]
	v_add_f64 v[42:43], v[54:55], v[58:59]
	v_fma_f64 v[46:47], v[52:53], s[4:5], v[50:51]
	v_fma_f64 v[50:51], v[52:53], s[2:3], v[50:51]
	v_add_f64 v[36:37], v[56:57], v[60:61]
	v_add_f64 v[38:39], v[72:73], v[62:63]
	v_fma_f64 v[52:53], v[68:69], s[2:3], v[64:65]
	v_fma_f64 v[56:57], v[68:69], s[4:5], v[64:65]
	;; [unrolled: 1-line block ×4, first 2 shown]
	ds_write_b128 v185, v[40:43]
	ds_write_b128 v185, v[44:47] offset:10368
	ds_write_b128 v185, v[48:51] offset:20736
	;; [unrolled: 1-line block ×5, first 2 shown]
	s_and_saveexec_b64 s[12:13], s[0:1]
	s_cbranch_execz .LBB0_45
; %bb.44:
	v_mul_f64 v[36:37], v[126:127], v[32:33]
	v_mul_f64 v[38:39], v[130:131], v[24:25]
	;; [unrolled: 1-line block ×4, first 2 shown]
	v_fma_f64 v[34:35], v[124:125], v[34:35], -v[36:37]
	v_fma_f64 v[26:27], v[128:129], v[26:27], -v[38:39]
	v_fma_f64 v[32:33], v[124:125], v[32:33], v[40:41]
	v_fma_f64 v[24:25], v[128:129], v[24:25], v[42:43]
	v_add_f64 v[42:43], v[34:35], v[30:31]
	v_add_f64 v[36:37], v[34:35], v[26:27]
	v_add_f64 v[44:45], v[34:35], -v[26:27]
	v_add_f64 v[38:39], v[32:33], v[24:25]
	v_add_f64 v[40:41], v[32:33], -v[24:25]
	v_add_f64 v[32:33], v[32:33], v[28:29]
	v_add_f64 v[26:27], v[26:27], v[42:43]
	v_fma_f64 v[36:37], v[36:37], -0.5, v[30:31]
	v_fma_f64 v[28:29], v[38:39], -0.5, v[28:29]
	v_add_f64 v[24:25], v[32:33], v[24:25]
	v_fma_f64 v[34:35], v[40:41], s[4:5], v[36:37]
	v_fma_f64 v[30:31], v[40:41], s[2:3], v[36:37]
	;; [unrolled: 1-line block ×4, first 2 shown]
	ds_write_b128 v185, v[24:27] offset:7776
	ds_write_b128 v185, v[32:35] offset:18144
	;; [unrolled: 1-line block ×3, first 2 shown]
.LBB0_45:
	s_or_b64 exec, exec, s[12:13]
	s_waitcnt lgkmcnt(0)
	s_barrier
	ds_read_b128 v[24:27], v185
	ds_read_b128 v[28:31], v185 offset:3888
	v_mad_u64_u32 v[32:33], s[2:3], s10, v184, 0
	v_mov_b32_e32 v42, s7
	s_waitcnt lgkmcnt(1)
	v_mul_f64 v[34:35], v[22:23], v[26:27]
	v_mul_f64 v[22:23], v[22:23], v[24:25]
	s_mul_hi_u32 s7, s8, 0xfffffbe3
	s_sub_i32 s7, s7, s8
	v_mad_u64_u32 v[36:37], s[2:3], s11, v184, v[33:34]
	v_fma_f64 v[24:25], v[20:21], v[24:25], v[34:35]
	v_fma_f64 v[22:23], v[20:21], v[26:27], -v[22:23]
	v_mov_b32_e32 v33, v36
	v_mad_u64_u32 v[36:37], s[2:3], s8, v188, 0
	s_mov_b32 s2, 0xa88f4696
	s_mov_b32 s3, 0x3f40db20
	v_mov_b32_e32 v20, v37
	v_mad_u64_u32 v[34:35], s[4:5], s9, v188, v[20:21]
	v_mul_f64 v[20:21], v[24:25], s[2:3]
	ds_read_b128 v[24:27], v185 offset:10368
	v_mov_b32_e32 v37, v34
	v_lshlrev_b64 v[38:39], 4, v[32:33]
	ds_read_b128 v[32:35], v185 offset:14256
	v_mul_f64 v[22:23], v[22:23], s[2:3]
	s_waitcnt lgkmcnt(1)
	v_mul_f64 v[40:41], v[2:3], v[26:27]
	v_mul_f64 v[2:3], v[2:3], v[24:25]
	v_add_co_u32_e32 v38, vcc, s6, v38
	v_lshlrev_b64 v[36:37], 4, v[36:37]
	v_addc_co_u32_e32 v39, vcc, v42, v39, vcc
	v_add_co_u32_e32 v36, vcc, v38, v36
	v_fma_f64 v[24:25], v[0:1], v[24:25], v[40:41]
	v_fma_f64 v[26:27], v[0:1], v[26:27], -v[2:3]
	ds_read_b128 v[0:3], v185 offset:20736
	v_addc_co_u32_e32 v37, vcc, v39, v37, vcc
	global_store_dwordx4 v[36:37], v[20:23], off
	s_mul_i32 s4, s9, 0x288
	s_mul_hi_u32 s5, s8, 0x288
	v_mul_f64 v[20:21], v[24:25], s[2:3]
	v_mul_f64 v[22:23], v[26:27], s[2:3]
	ds_read_b128 v[24:27], v185 offset:24624
	s_waitcnt lgkmcnt(1)
	v_mul_f64 v[38:39], v[6:7], v[2:3]
	v_mul_f64 v[6:7], v[6:7], v[0:1]
	s_add_i32 s5, s5, s4
	s_mul_i32 s4, s8, 0x288
	s_lshl_b64 s[4:5], s[4:5], 4
	v_mov_b32_e32 v40, s5
	s_mul_i32 s6, s9, 0xfffffbe3
	s_add_i32 s7, s7, s6
	v_fma_f64 v[0:1], v[4:5], v[0:1], v[38:39]
	v_fma_f64 v[2:3], v[4:5], v[2:3], -v[6:7]
	v_mul_f64 v[4:5], v[10:11], v[30:31]
	v_mul_f64 v[6:7], v[10:11], v[28:29]
	v_add_co_u32_e32 v10, vcc, s4, v36
	v_addc_co_u32_e32 v11, vcc, v37, v40, vcc
	v_mul_f64 v[0:1], v[0:1], s[2:3]
	v_mul_f64 v[2:3], v[2:3], s[2:3]
	v_fma_f64 v[4:5], v[8:9], v[28:29], v[4:5]
	v_fma_f64 v[6:7], v[8:9], v[30:31], -v[6:7]
	v_add_co_u32_e32 v8, vcc, s4, v10
	v_addc_co_u32_e32 v9, vcc, v11, v40, vcc
	global_store_dwordx4 v[10:11], v[20:23], off
	global_store_dwordx4 v[8:9], v[0:3], off
	s_waitcnt lgkmcnt(0)
	v_mul_f64 v[10:11], v[18:19], v[26:27]
	v_mul_f64 v[0:1], v[4:5], s[2:3]
	;; [unrolled: 1-line block ×6, first 2 shown]
	s_mul_i32 s6, s8, 0xfffffbe3
	s_lshl_b64 s[6:7], s[6:7], 4
	v_fma_f64 v[10:11], v[16:17], v[24:25], v[10:11]
	v_mov_b32_e32 v18, s7
	v_fma_f64 v[4:5], v[12:13], v[32:33], v[4:5]
	v_fma_f64 v[6:7], v[12:13], v[34:35], -v[6:7]
	v_fma_f64 v[12:13], v[16:17], v[26:27], -v[14:15]
	v_add_co_u32_e32 v14, vcc, s6, v8
	v_addc_co_u32_e32 v15, vcc, v9, v18, vcc
	v_mul_f64 v[8:9], v[10:11], s[2:3]
	v_mul_f64 v[4:5], v[4:5], s[2:3]
	;; [unrolled: 1-line block ×4, first 2 shown]
	global_store_dwordx4 v[14:15], v[0:3], off
	s_nop 0
	v_add_co_u32_e32 v0, vcc, s4, v14
	v_addc_co_u32_e32 v1, vcc, v15, v40, vcc
	global_store_dwordx4 v[0:1], v[4:7], off
	v_add_co_u32_e32 v0, vcc, s4, v0
	v_addc_co_u32_e32 v1, vcc, v1, v40, vcc
	global_store_dwordx4 v[0:1], v[8:11], off
	s_and_b64 exec, exec, s[0:1]
	s_cbranch_execz .LBB0_47
; %bb.46:
	v_add_co_u32_e32 v10, vcc, 0x1000, v186
	v_addc_co_u32_e32 v11, vcc, 0, v187, vcc
	s_movk_i32 s0, 0x4000
	v_add_co_u32_e32 v12, vcc, s0, v186
	v_addc_co_u32_e32 v13, vcc, 0, v187, vcc
	s_movk_i32 s0, 0x6000
	global_load_dwordx4 v[2:5], v[10:11], off offset:3680
	global_load_dwordx4 v[6:9], v[12:13], off offset:1760
	v_add_co_u32_e32 v10, vcc, s0, v186
	v_addc_co_u32_e32 v11, vcc, 0, v187, vcc
	global_load_dwordx4 v[10:13], v[10:11], off offset:3936
	ds_read_b128 v[14:17], v185 offset:7776
	ds_read_b128 v[18:21], v185 offset:18144
	;; [unrolled: 1-line block ×3, first 2 shown]
	v_mov_b32_e32 v32, s7
	v_mov_b32_e32 v33, s5
	s_waitcnt vmcnt(2) lgkmcnt(2)
	v_mul_f64 v[26:27], v[16:17], v[4:5]
	v_mul_f64 v[4:5], v[14:15], v[4:5]
	s_waitcnt vmcnt(1) lgkmcnt(1)
	v_mul_f64 v[28:29], v[20:21], v[8:9]
	v_mul_f64 v[8:9], v[18:19], v[8:9]
	s_waitcnt vmcnt(0) lgkmcnt(0)
	v_mul_f64 v[30:31], v[24:25], v[12:13]
	v_mul_f64 v[12:13], v[22:23], v[12:13]
	v_fma_f64 v[14:15], v[14:15], v[2:3], v[26:27]
	v_fma_f64 v[2:3], v[2:3], v[16:17], -v[4:5]
	v_fma_f64 v[4:5], v[18:19], v[6:7], v[28:29]
	v_fma_f64 v[6:7], v[6:7], v[20:21], -v[8:9]
	;; [unrolled: 2-line block ×3, first 2 shown]
	v_add_co_u32_e32 v12, vcc, s6, v0
	v_addc_co_u32_e32 v13, vcc, v1, v32, vcc
	v_mul_f64 v[0:1], v[14:15], s[2:3]
	v_mul_f64 v[2:3], v[2:3], s[2:3]
	;; [unrolled: 1-line block ×6, first 2 shown]
	v_add_co_u32_e32 v14, vcc, s4, v12
	v_addc_co_u32_e32 v15, vcc, v13, v33, vcc
	v_add_co_u32_e32 v16, vcc, s4, v14
	v_addc_co_u32_e32 v17, vcc, v15, v33, vcc
	global_store_dwordx4 v[12:13], v[0:3], off
	global_store_dwordx4 v[14:15], v[4:7], off
	;; [unrolled: 1-line block ×3, first 2 shown]
.LBB0_47:
	s_endpgm
	.section	.rodata,"a",@progbits
	.p2align	6, 0x0
	.amdhsa_kernel bluestein_single_fwd_len1944_dim1_dp_op_CI_CI
		.amdhsa_group_segment_fixed_size 31104
		.amdhsa_private_segment_fixed_size 0
		.amdhsa_kernarg_size 104
		.amdhsa_user_sgpr_count 6
		.amdhsa_user_sgpr_private_segment_buffer 1
		.amdhsa_user_sgpr_dispatch_ptr 0
		.amdhsa_user_sgpr_queue_ptr 0
		.amdhsa_user_sgpr_kernarg_segment_ptr 1
		.amdhsa_user_sgpr_dispatch_id 0
		.amdhsa_user_sgpr_flat_scratch_init 0
		.amdhsa_user_sgpr_private_segment_size 0
		.amdhsa_uses_dynamic_stack 0
		.amdhsa_system_sgpr_private_segment_wavefront_offset 0
		.amdhsa_system_sgpr_workgroup_id_x 1
		.amdhsa_system_sgpr_workgroup_id_y 0
		.amdhsa_system_sgpr_workgroup_id_z 0
		.amdhsa_system_sgpr_workgroup_info 0
		.amdhsa_system_vgpr_workitem_id 0
		.amdhsa_next_free_vgpr 245
		.amdhsa_next_free_sgpr 20
		.amdhsa_reserve_vcc 1
		.amdhsa_reserve_flat_scratch 0
		.amdhsa_float_round_mode_32 0
		.amdhsa_float_round_mode_16_64 0
		.amdhsa_float_denorm_mode_32 3
		.amdhsa_float_denorm_mode_16_64 3
		.amdhsa_dx10_clamp 1
		.amdhsa_ieee_mode 1
		.amdhsa_fp16_overflow 0
		.amdhsa_exception_fp_ieee_invalid_op 0
		.amdhsa_exception_fp_denorm_src 0
		.amdhsa_exception_fp_ieee_div_zero 0
		.amdhsa_exception_fp_ieee_overflow 0
		.amdhsa_exception_fp_ieee_underflow 0
		.amdhsa_exception_fp_ieee_inexact 0
		.amdhsa_exception_int_div_zero 0
	.end_amdhsa_kernel
	.text
.Lfunc_end0:
	.size	bluestein_single_fwd_len1944_dim1_dp_op_CI_CI, .Lfunc_end0-bluestein_single_fwd_len1944_dim1_dp_op_CI_CI
                                        ; -- End function
	.section	.AMDGPU.csdata,"",@progbits
; Kernel info:
; codeLenInByte = 12380
; NumSgprs: 24
; NumVgprs: 245
; ScratchSize: 0
; MemoryBound: 0
; FloatMode: 240
; IeeeMode: 1
; LDSByteSize: 31104 bytes/workgroup (compile time only)
; SGPRBlocks: 2
; VGPRBlocks: 61
; NumSGPRsForWavesPerEU: 24
; NumVGPRsForWavesPerEU: 245
; Occupancy: 1
; WaveLimiterHint : 1
; COMPUTE_PGM_RSRC2:SCRATCH_EN: 0
; COMPUTE_PGM_RSRC2:USER_SGPR: 6
; COMPUTE_PGM_RSRC2:TRAP_HANDLER: 0
; COMPUTE_PGM_RSRC2:TGID_X_EN: 1
; COMPUTE_PGM_RSRC2:TGID_Y_EN: 0
; COMPUTE_PGM_RSRC2:TGID_Z_EN: 0
; COMPUTE_PGM_RSRC2:TIDIG_COMP_CNT: 0
	.type	__hip_cuid_c3a0566ac735caeb,@object ; @__hip_cuid_c3a0566ac735caeb
	.section	.bss,"aw",@nobits
	.globl	__hip_cuid_c3a0566ac735caeb
__hip_cuid_c3a0566ac735caeb:
	.byte	0                               ; 0x0
	.size	__hip_cuid_c3a0566ac735caeb, 1

	.ident	"AMD clang version 19.0.0git (https://github.com/RadeonOpenCompute/llvm-project roc-6.4.0 25133 c7fe45cf4b819c5991fe208aaa96edf142730f1d)"
	.section	".note.GNU-stack","",@progbits
	.addrsig
	.addrsig_sym __hip_cuid_c3a0566ac735caeb
	.amdgpu_metadata
---
amdhsa.kernels:
  - .args:
      - .actual_access:  read_only
        .address_space:  global
        .offset:         0
        .size:           8
        .value_kind:     global_buffer
      - .actual_access:  read_only
        .address_space:  global
        .offset:         8
        .size:           8
        .value_kind:     global_buffer
      - .actual_access:  read_only
        .address_space:  global
        .offset:         16
        .size:           8
        .value_kind:     global_buffer
      - .actual_access:  read_only
        .address_space:  global
        .offset:         24
        .size:           8
        .value_kind:     global_buffer
      - .actual_access:  read_only
        .address_space:  global
        .offset:         32
        .size:           8
        .value_kind:     global_buffer
      - .offset:         40
        .size:           8
        .value_kind:     by_value
      - .address_space:  global
        .offset:         48
        .size:           8
        .value_kind:     global_buffer
      - .address_space:  global
        .offset:         56
        .size:           8
        .value_kind:     global_buffer
      - .address_space:  global
        .offset:         64
        .size:           8
        .value_kind:     global_buffer
      - .address_space:  global
        .offset:         72
        .size:           8
        .value_kind:     global_buffer
      - .offset:         80
        .size:           4
        .value_kind:     by_value
      - .address_space:  global
        .offset:         88
        .size:           8
        .value_kind:     global_buffer
      - .address_space:  global
        .offset:         96
        .size:           8
        .value_kind:     global_buffer
    .group_segment_fixed_size: 31104
    .kernarg_segment_align: 8
    .kernarg_segment_size: 104
    .language:       OpenCL C
    .language_version:
      - 2
      - 0
    .max_flat_workgroup_size: 243
    .name:           bluestein_single_fwd_len1944_dim1_dp_op_CI_CI
    .private_segment_fixed_size: 0
    .sgpr_count:     24
    .sgpr_spill_count: 0
    .symbol:         bluestein_single_fwd_len1944_dim1_dp_op_CI_CI.kd
    .uniform_work_group_size: 1
    .uses_dynamic_stack: false
    .vgpr_count:     245
    .vgpr_spill_count: 0
    .wavefront_size: 64
amdhsa.target:   amdgcn-amd-amdhsa--gfx906
amdhsa.version:
  - 1
  - 2
...

	.end_amdgpu_metadata
